;; amdgpu-corpus repo=ROCm/rocFFT kind=compiled arch=gfx950 opt=O3
	.text
	.amdgcn_target "amdgcn-amd-amdhsa--gfx950"
	.amdhsa_code_object_version 6
	.protected	bluestein_single_fwd_len663_dim1_dp_op_CI_CI ; -- Begin function bluestein_single_fwd_len663_dim1_dp_op_CI_CI
	.globl	bluestein_single_fwd_len663_dim1_dp_op_CI_CI
	.p2align	8
	.type	bluestein_single_fwd_len663_dim1_dp_op_CI_CI,@function
bluestein_single_fwd_len663_dim1_dp_op_CI_CI: ; @bluestein_single_fwd_len663_dim1_dp_op_CI_CI
; %bb.0:
	s_load_dwordx4 s[4:7], s[0:1], 0x28
	v_mul_u32_u24_e32 v1, 0x506, v0
	v_mov_b32_e32 v193, 0
	v_add_u32_sdwa v2, s2, v1 dst_sel:DWORD dst_unused:UNUSED_PAD src0_sel:DWORD src1_sel:WORD_1
	v_mov_b32_e32 v3, v193
	v_accvgpr_write_b32 a84, v2
	s_waitcnt lgkmcnt(0)
	v_cmp_gt_u64_e32 vcc, s[4:5], v[2:3]
	s_and_saveexec_b64 s[2:3], vcc
	s_cbranch_execz .LBB0_23
; %bb.1:
	s_load_dwordx2 s[12:13], s[0:1], 0x0
	s_load_dwordx2 s[14:15], s[0:1], 0x38
	v_mov_b32_e32 v2, 51
	v_mul_lo_u16_sdwa v1, v1, v2 dst_sel:DWORD dst_unused:UNUSED_PAD src0_sel:WORD_1 src1_sel:DWORD
	v_sub_u16_e32 v192, v0, v1
	v_cmp_gt_u16_e64 s[4:5], 39, v192
	v_lshlrev_b32_e32 v208, 4, v192
	s_and_saveexec_b64 s[2:3], s[4:5]
	s_cbranch_execz .LBB0_3
; %bb.2:
	s_load_dwordx2 s[8:9], s[0:1], 0x18
	v_accvgpr_read_b32 v10, a84
	v_mov_b32_e32 v0, s6
	v_mov_b32_e32 v1, s7
	;; [unrolled: 1-line block ×3, first 2 shown]
	s_waitcnt lgkmcnt(0)
	s_load_dwordx4 s[8:11], s[8:9], 0x0
	v_mov_b32_e32 v70, 0x270
	v_lshl_add_u64 v[68:69], s[12:13], 0, v[208:209]
	s_waitcnt lgkmcnt(0)
	v_mad_u64_u32 v[2:3], s[6:7], s10, v10, 0
	v_mad_u64_u32 v[4:5], s[6:7], s8, v192, 0
	v_mov_b32_e32 v6, v3
	v_mov_b32_e32 v8, v5
	v_mad_u64_u32 v[6:7], s[6:7], s11, v10, v[6:7]
	v_mov_b32_e32 v3, v6
	v_mad_u64_u32 v[6:7], s[6:7], s9, v192, v[8:9]
	v_mov_b32_e32 v5, v6
	v_lshl_add_u64 v[0:1], v[2:3], 4, v[0:1]
	v_lshl_add_u64 v[32:33], v[4:5], 4, v[0:1]
	s_movk_i32 s6, 0x1000
	v_add_co_u32_e32 v88, vcc, s6, v68
	s_mul_i32 s6, s9, 0x270
	v_mad_u64_u32 v[44:45], s[10:11], s8, v70, v[32:33]
	global_load_dwordx4 v[0:3], v[32:33], off
	global_load_dwordx4 v[4:7], v208, s[12:13]
	v_add_u32_e32 v45, s6, v45
	global_load_dwordx4 v[8:11], v208, s[12:13] offset:624
	v_mad_u64_u32 v[48:49], s[10:11], s8, v70, v[44:45]
	v_add_u32_e32 v49, s6, v49
	global_load_dwordx4 v[12:15], v208, s[12:13] offset:1248
	global_load_dwordx4 v[16:19], v208, s[12:13] offset:1872
	;; [unrolled: 1-line block ×5, first 2 shown]
	v_addc_co_u32_e32 v89, vcc, 0, v69, vcc
	global_load_dwordx4 v[40:43], v[44:45], off
	global_load_dwordx4 v[32:35], v[88:89], off offset:272
	global_load_dwordx4 v[36:39], v[88:89], off offset:896
	v_mad_u64_u32 v[56:57], s[10:11], s8, v70, v[48:49]
	global_load_dwordx4 v[44:47], v[48:49], off
	v_add_u32_e32 v57, s6, v57
	global_load_dwordx4 v[60:63], v[56:57], off
	global_load_dwordx4 v[52:55], v[88:89], off offset:1520
	global_load_dwordx4 v[48:51], v[88:89], off offset:2144
	v_mad_u64_u32 v[56:57], s[10:11], s8, v70, v[56:57]
	v_add_u32_e32 v57, s6, v57
	global_load_dwordx4 v[64:67], v[56:57], off
	v_mad_u64_u32 v[80:81], s[10:11], s8, v70, v[56:57]
	v_add_u32_e32 v81, s6, v81
	v_mad_u64_u32 v[90:91], s[10:11], s8, v70, v[80:81]
	v_add_u32_e32 v91, s6, v91
	global_load_dwordx4 v[56:59], v[80:81], off
	global_load_dwordx4 v[72:75], v[88:89], off offset:2768
	global_load_dwordx4 v[76:79], v[88:89], off offset:3392
	v_mad_u64_u32 v[92:93], s[10:11], s8, v70, v[90:91]
	global_load_dwordx4 v[80:83], v[90:91], off
	global_load_dwordx4 v[84:87], v[88:89], off offset:4016
	v_add_u32_e32 v93, s6, v93
	global_load_dwordx4 v[88:91], v[92:93], off
	v_mad_u64_u32 v[96:97], s[10:11], s8, v70, v[92:93]
	v_add_u32_e32 v97, s6, v97
	global_load_dwordx4 v[92:95], v[96:97], off
	v_mad_u64_u32 v[100:101], s[10:11], s8, v70, v[96:97]
	;; [unrolled: 3-line block ×6, first 2 shown]
	v_add_u32_e32 v117, s6, v117
	s_movk_i32 s7, 0x2000
	global_load_dwordx4 v[112:115], v[116:117], off
	v_mad_u64_u32 v[118:119], s[10:11], s8, v70, v[116:117]
	v_add_co_u32_e32 v136, vcc, s7, v68
	v_add_u32_e32 v119, s6, v119
	s_nop 0
	v_addc_co_u32_e32 v137, vcc, 0, v69, vcc
	global_load_dwordx4 v[120:123], v[118:119], off
	global_load_dwordx4 v[124:127], v[136:137], off offset:544
	v_mad_u64_u32 v[68:69], s[10:11], s8, v70, v[118:119]
	v_add_u32_e32 v69, s6, v69
	global_load_dwordx4 v[128:131], v[68:69], off
	global_load_dwordx4 v[132:135], v[136:137], off offset:1168
	v_mad_u64_u32 v[68:69], s[8:9], s8, v70, v[68:69]
	v_add_u32_e32 v69, s6, v69
	global_load_dwordx4 v[68:71], v[68:69], off
	s_nop 0
	global_load_dwordx4 v[136:139], v[136:137], off offset:1792
	s_waitcnt vmcnt(32)
	v_mul_f64 v[116:117], v[2:3], v[6:7]
	v_mul_f64 v[6:7], v[0:1], v[6:7]
	v_fmac_f64_e32 v[116:117], v[0:1], v[4:5]
	v_fma_f64 v[118:119], v[2:3], v[4:5], -v[6:7]
	ds_write_b128 v208, v[116:119]
	s_waitcnt vmcnt(25)
	v_mul_f64 v[0:1], v[42:43], v[10:11]
	v_mul_f64 v[2:3], v[40:41], v[10:11]
	v_fmac_f64_e32 v[0:1], v[40:41], v[8:9]
	v_fma_f64 v[2:3], v[42:43], v[8:9], -v[2:3]
	ds_write_b128 v208, v[0:3] offset:624
	s_waitcnt vmcnt(22)
	v_mul_f64 v[0:1], v[46:47], v[14:15]
	v_mul_f64 v[2:3], v[44:45], v[14:15]
	v_fmac_f64_e32 v[0:1], v[44:45], v[12:13]
	v_fma_f64 v[2:3], v[46:47], v[12:13], -v[2:3]
	ds_write_b128 v208, v[0:3] offset:1248
	;; [unrolled: 6-line block ×16, first 2 shown]
.LBB0_3:
	s_or_b64 exec, exec, s[2:3]
	s_load_dwordx2 s[2:3], s[0:1], 0x20
	s_load_dwordx2 s[6:7], s[0:1], 0x8
	s_waitcnt lgkmcnt(0)
	; wave barrier
	s_waitcnt lgkmcnt(0)
                                        ; implicit-def: $vgpr8_vgpr9
                                        ; implicit-def: $vgpr12_vgpr13
                                        ; implicit-def: $vgpr16_vgpr17
                                        ; implicit-def: $vgpr20_vgpr21
                                        ; implicit-def: $vgpr24_vgpr25
                                        ; implicit-def: $vgpr28_vgpr29
                                        ; implicit-def: $vgpr32_vgpr33
                                        ; implicit-def: $vgpr36_vgpr37
                                        ; implicit-def: $vgpr40_vgpr41
                                        ; implicit-def: $vgpr44_vgpr45
                                        ; implicit-def: $vgpr48_vgpr49
                                        ; implicit-def: $vgpr52_vgpr53
                                        ; implicit-def: $vgpr56_vgpr57
                                        ; implicit-def: $vgpr60_vgpr61
                                        ; implicit-def: $vgpr64_vgpr65
                                        ; implicit-def: $vgpr68_vgpr69
                                        ; implicit-def: $vgpr72_vgpr73
	s_and_saveexec_b64 s[0:1], s[4:5]
	s_cbranch_execz .LBB0_5
; %bb.4:
	ds_read_b128 v[8:11], v208
	ds_read_b128 v[12:15], v208 offset:624
	ds_read_b128 v[16:19], v208 offset:1248
	;; [unrolled: 1-line block ×16, first 2 shown]
.LBB0_5:
	s_or_b64 exec, exec, s[0:1]
	s_mov_b32 s22, 0x5d8e7cdc
	s_waitcnt lgkmcnt(0)
	v_add_f64 v[100:101], v[14:15], -v[74:75]
	s_mov_b32 s0, 0x370991
	s_mov_b32 s23, 0xbfd71e95
	;; [unrolled: 1-line block ×3, first 2 shown]
	v_add_f64 v[136:137], v[12:13], v[72:73]
	v_add_f64 v[104:105], v[12:13], -v[72:73]
	s_mov_b32 s1, 0x3fedd6d0
	v_mul_f64 v[86:87], v[100:101], s[22:23]
	s_mov_b32 s10, 0x75d4884
	s_mov_b32 s35, 0xbfe58eea
	v_add_f64 v[102:103], v[18:19], -v[70:71]
	v_add_f64 v[138:139], v[14:15], v[74:75]
	v_mul_f64 v[88:89], v[104:105], s[22:23]
	v_fma_f64 v[0:1], s[0:1], v[136:137], v[86:87]
	s_mov_b32 s11, 0x3fe7a5f6
	s_mov_b32 s28, 0x7c9e640b
	v_add_f64 v[144:145], v[16:17], v[68:69]
	v_add_f64 v[106:107], v[16:17], -v[68:69]
	v_mul_f64 v[90:91], v[102:103], s[34:35]
	v_add_f64 v[0:1], v[8:9], v[0:1]
	v_fma_f64 v[2:3], v[138:139], s[0:1], -v[88:89]
	s_mov_b32 s8, 0x2b2883cd
	s_mov_b32 s29, 0xbfeca52d
	v_add_f64 v[146:147], v[18:19], v[70:71]
	v_mul_f64 v[92:93], v[106:107], s[34:35]
	v_fma_f64 v[4:5], s[10:11], v[144:145], v[90:91]
	v_add_f64 v[110:111], v[22:23], -v[66:67]
	v_add_f64 v[2:3], v[10:11], v[2:3]
	s_mov_b32 s9, 0x3fdc86fa
	s_mov_b32 s36, 0xeb564b22
	v_add_f64 v[0:1], v[4:5], v[0:1]
	v_fma_f64 v[4:5], v[146:147], s[10:11], -v[92:93]
	v_add_f64 v[150:151], v[20:21], v[64:65]
	v_add_f64 v[108:109], v[20:21], -v[64:65]
	v_mul_f64 v[94:95], v[110:111], s[28:29]
	s_mov_b32 s16, 0x3259b75e
	s_mov_b32 s37, 0xbfefdd0d
	v_add_f64 v[2:3], v[4:5], v[2:3]
	v_add_f64 v[152:153], v[22:23], v[66:67]
	v_mul_f64 v[96:97], v[108:109], s[28:29]
	v_fma_f64 v[4:5], s[8:9], v[150:151], v[94:95]
	v_add_f64 v[212:213], v[26:27], -v[62:63]
	s_mov_b32 s17, 0x3fb79ee6
	v_add_f64 v[0:1], v[4:5], v[0:1]
	v_fma_f64 v[4:5], v[152:153], s[8:9], -v[96:97]
	s_mov_b32 s42, 0x923c349f
	v_add_f64 v[158:159], v[24:25], v[60:61]
	v_add_f64 v[220:221], v[24:25], -v[60:61]
	v_mul_f64 v[98:99], v[212:213], s[36:37]
	v_add_f64 v[2:3], v[4:5], v[2:3]
	s_mov_b32 s18, 0xc61f0d01
	s_mov_b32 s43, 0x3feec746
	v_add_f64 v[160:161], v[26:27], v[62:63]
	v_mul_f64 v[202:203], v[220:221], s[36:37]
	v_fma_f64 v[4:5], s[16:17], v[158:159], v[98:99]
	v_add_f64 v[226:227], v[30:31], -v[58:59]
	s_mov_b32 s39, 0xbfeec746
	s_mov_b32 s38, s42
	;; [unrolled: 1-line block ×3, first 2 shown]
	v_add_f64 v[0:1], v[4:5], v[0:1]
	v_fma_f64 v[4:5], v[160:161], s[16:17], -v[202:203]
	v_add_f64 v[162:163], v[28:29], v[56:57]
	v_mul_f64 v[204:205], v[226:227], s[38:39]
	v_add_f64 v[222:223], v[28:29], -v[56:57]
	s_mov_b32 s40, 0x6c9a05f6
	v_add_f64 v[2:3], v[4:5], v[2:3]
	v_fma_f64 v[4:5], s[18:19], v[162:163], v[204:205]
	v_add_f64 v[166:167], v[30:31], v[58:59]
	v_mul_f64 v[206:207], v[222:223], s[38:39]
	s_mov_b32 s20, 0x6ed5f1bb
	s_mov_b32 s41, 0xbfe9895b
	v_add_f64 v[238:239], v[34:35], -v[54:55]
	v_add_f64 v[0:1], v[4:5], v[0:1]
	v_fma_f64 v[4:5], v[166:167], s[18:19], -v[206:207]
	s_mov_b32 s21, 0xbfe348c8
	v_add_f64 v[170:171], v[32:33], v[52:53]
	v_mul_f64 v[210:211], v[238:239], s[40:41]
	v_add_f64 v[234:235], v[32:33], -v[52:53]
	s_mov_b32 s44, 0x4363dd80
	v_add_f64 v[2:3], v[4:5], v[2:3]
	v_fma_f64 v[4:5], s[20:21], v[170:171], v[210:211]
	v_add_f64 v[174:175], v[34:35], v[54:55]
	v_mul_f64 v[214:215], v[234:235], s[40:41]
	s_mov_b32 s26, 0x910ea3b9
	s_mov_b32 s45, 0x3fe0d888
	;; [unrolled: 1-line block ×4, first 2 shown]
	v_add_f64 v[254:255], v[38:39], -v[50:51]
	v_add_f64 v[0:1], v[4:5], v[0:1]
	v_fma_f64 v[4:5], v[174:175], s[20:21], -v[214:215]
	s_mov_b32 s27, 0xbfeb34fa
	v_add_f64 v[178:179], v[36:37], v[48:49]
	v_mul_f64 v[216:217], v[254:255], s[48:49]
	v_add_f64 v[250:251], v[36:37], -v[48:49]
	s_mov_b32 s46, 0xacd6c6b4
	v_add_f64 v[2:3], v[4:5], v[2:3]
	v_fma_f64 v[4:5], s[26:27], v[178:179], v[216:217]
	v_add_f64 v[182:183], v[38:39], v[50:51]
	v_mul_f64 v[218:219], v[250:251], s[48:49]
	s_mov_b32 s30, 0x7faef3
	s_mov_b32 s47, 0xbfc7851a
	v_add_f64 v[122:123], v[42:43], -v[46:47]
	v_add_f64 v[0:1], v[4:5], v[0:1]
	v_fma_f64 v[4:5], v[182:183], s[26:27], -v[218:219]
	s_mov_b32 s31, 0xbfef7484
	v_add_f64 v[190:191], v[40:41], v[44:45]
	v_mul_f64 v[224:225], v[122:123], s[46:47]
	v_add_f64 v[2:3], v[4:5], v[2:3]
	v_fma_f64 v[4:5], s[30:31], v[190:191], v[224:225]
	v_add_f64 v[120:121], v[40:41], -v[44:45]
	v_add_f64 v[196:197], v[4:5], v[0:1]
	v_add_f64 v[200:201], v[42:43], v[46:47]
	v_mul_f64 v[0:1], v[120:121], s[46:47]
	v_fma_f64 v[4:5], v[200:201], s[30:31], -v[0:1]
	v_add_f64 v[198:199], v[4:5], v[2:3]
	v_mul_f64 v[2:3], v[100:101], s[34:35]
	v_accvgpr_write_b32 a7, v3
	v_accvgpr_write_b32 a6, v2
	v_fma_f64 v[4:5], s[10:11], v[136:137], v[2:3]
	v_mul_f64 v[2:3], v[102:103], s[36:37]
	v_accvgpr_write_b32 a9, v3
	v_accvgpr_write_b32 a8, v2
	v_fma_f64 v[6:7], s[16:17], v[144:145], v[2:3]
	v_mul_f64 v[2:3], v[104:105], s[34:35]
	v_add_f64 v[4:5], v[8:9], v[4:5]
	v_accvgpr_write_b32 a15, v3
	v_add_f64 v[4:5], v[6:7], v[4:5]
	v_accvgpr_write_b32 a14, v2
	v_fma_f64 v[6:7], v[138:139], s[10:11], -v[2:3]
	v_mul_f64 v[2:3], v[106:107], s[36:37]
	v_accvgpr_write_b32 a17, v3
	v_accvgpr_write_b32 a16, v2
	v_fma_f64 v[76:77], v[146:147], s[16:17], -v[2:3]
	v_mul_f64 v[2:3], v[110:111], s[40:41]
	v_add_f64 v[6:7], v[10:11], v[6:7]
	v_accvgpr_write_b32 a11, v3
	v_add_f64 v[6:7], v[76:77], v[6:7]
	v_accvgpr_write_b32 a10, v2
	v_fma_f64 v[76:77], s[20:21], v[150:151], v[2:3]
	v_mul_f64 v[2:3], v[108:109], s[40:41]
	v_accvgpr_write_b32 a21, v3
	v_add_f64 v[4:5], v[76:77], v[4:5]
	v_accvgpr_write_b32 a20, v2
	v_fma_f64 v[76:77], v[152:153], s[20:21], -v[2:3]
	v_mul_f64 v[2:3], v[212:213], s[46:47]
	v_accvgpr_write_b32 a13, v3
	v_add_f64 v[6:7], v[76:77], v[6:7]
	v_accvgpr_write_b32 a12, v2
	v_fma_f64 v[76:77], s[30:31], v[158:159], v[2:3]
	v_mul_f64 v[2:3], v[220:221], s[46:47]
	v_accvgpr_write_b32 a27, v3
	v_add_f64 v[4:5], v[76:77], v[4:5]
	v_accvgpr_write_b32 a26, v2
	v_fma_f64 v[76:77], v[160:161], s[30:31], -v[2:3]
	v_mul_f64 v[2:3], v[226:227], s[44:45]
	;; [unrolled: 10-line block ×3, first 2 shown]
	v_accvgpr_write_b32 a23, v3
	v_add_f64 v[6:7], v[76:77], v[6:7]
	v_accvgpr_write_b32 a22, v2
	v_fma_f64 v[76:77], s[18:19], v[170:171], v[2:3]
	v_mul_f64 v[2:3], v[234:235], s[42:43]
	v_accvgpr_write_b32 a33, v3
	s_mov_b32 s55, 0x3feca52d
	s_mov_b32 s54, s28
	v_add_f64 v[4:5], v[76:77], v[4:5]
	v_accvgpr_write_b32 a32, v2
	v_fma_f64 v[76:77], v[174:175], s[18:19], -v[2:3]
	v_mul_f64 v[2:3], v[254:255], s[54:55]
	v_accvgpr_write_b32 a25, v3
	v_add_f64 v[6:7], v[76:77], v[6:7]
	v_accvgpr_write_b32 a24, v2
	v_fma_f64 v[76:77], s[8:9], v[178:179], v[2:3]
	v_mul_f64 v[2:3], v[250:251], s[54:55]
	v_accvgpr_write_b32 a35, v3
	s_mov_b32 s53, 0x3fd71e95
	s_mov_b32 s52, s22
	v_add_f64 v[4:5], v[76:77], v[4:5]
	v_accvgpr_write_b32 a34, v2
	v_fma_f64 v[76:77], v[182:183], s[8:9], -v[2:3]
	v_mul_f64 v[2:3], v[122:123], s[52:53]
	v_add_f64 v[6:7], v[76:77], v[6:7]
	v_accvgpr_write_b32 a29, v3
	v_fma_f64 v[76:77], s[0:1], v[190:191], v[2:3]
	v_accvgpr_write_b32 a28, v2
	v_add_f64 v[2:3], v[76:77], v[4:5]
	v_mul_f64 v[4:5], v[120:121], s[52:53]
	v_accvgpr_write_b32 a37, v5
	v_fma_f64 v[76:77], v[200:201], s[0:1], -v[4:5]
	v_accvgpr_write_b32 a36, v4
	v_add_f64 v[4:5], v[76:77], v[6:7]
	v_mul_f64 v[6:7], v[100:101], s[28:29]
	v_fma_f64 v[76:77], s[8:9], v[136:137], v[6:7]
	v_mul_f64 v[228:229], v[102:103], s[40:41]
	v_add_f64 v[76:77], v[8:9], v[76:77]
	v_fma_f64 v[78:79], s[20:21], v[144:145], v[228:229]
	v_mul_f64 v[244:245], v[104:105], s[28:29]
	v_add_f64 v[76:77], v[78:79], v[76:77]
	v_fma_f64 v[78:79], v[138:139], s[8:9], -v[244:245]
	v_mul_f64 v[246:247], v[106:107], s[40:41]
	s_mov_b32 s57, 0x3fc7851a
	s_mov_b32 s56, s46
	v_add_f64 v[78:79], v[10:11], v[78:79]
	v_fma_f64 v[80:81], v[146:147], s[20:21], -v[246:247]
	v_mul_f64 v[230:231], v[110:111], s[56:57]
	v_add_f64 v[78:79], v[80:81], v[78:79]
	v_fma_f64 v[80:81], s[30:31], v[150:151], v[230:231]
	v_mul_f64 v[252:253], v[108:109], s[56:57]
	v_add_f64 v[76:77], v[80:81], v[76:77]
	v_fma_f64 v[80:81], v[152:153], s[30:31], -v[252:253]
	v_mul_f64 v[232:233], v[212:213], s[42:43]
	v_add_f64 v[78:79], v[80:81], v[78:79]
	v_fma_f64 v[80:81], s[18:19], v[158:159], v[232:233]
	v_mul_f64 v[112:113], v[220:221], s[42:43]
	s_mov_b32 s51, 0x3fe58eea
	s_mov_b32 s50, s34
	v_add_f64 v[76:77], v[80:81], v[76:77]
	v_fma_f64 v[80:81], v[160:161], s[18:19], -v[112:113]
	v_mul_f64 v[236:237], v[226:227], s[50:51]
	v_add_f64 v[78:79], v[80:81], v[78:79]
	v_fma_f64 v[80:81], s[10:11], v[162:163], v[236:237]
	v_mul_f64 v[114:115], v[222:223], s[50:51]
	v_add_f64 v[76:77], v[80:81], v[76:77]
	v_fma_f64 v[80:81], v[166:167], s[10:11], -v[114:115]
	v_mul_f64 v[240:241], v[238:239], s[22:23]
	v_add_f64 v[78:79], v[80:81], v[78:79]
	v_fma_f64 v[80:81], s[0:1], v[170:171], v[240:241]
	v_mul_f64 v[116:117], v[234:235], s[22:23]
	;; [unrolled: 6-line block ×5, first 2 shown]
	v_add_f64 v[76:77], v[8:9], v[76:77]
	v_fma_f64 v[78:79], s[30:31], v[144:145], v[140:141]
	v_mul_f64 v[154:155], v[104:105], s[36:37]
	v_add_f64 v[76:77], v[78:79], v[76:77]
	v_fma_f64 v[78:79], v[138:139], s[16:17], -v[154:155]
	v_mul_f64 v[164:165], v[106:107], s[46:47]
	v_add_f64 v[78:79], v[10:11], v[78:79]
	v_fma_f64 v[80:81], v[146:147], s[30:31], -v[164:165]
	v_mul_f64 v[142:143], v[110:111], s[42:43]
	v_add_f64 v[80:81], v[80:81], v[78:79]
	v_fma_f64 v[78:79], s[18:19], v[150:151], v[142:143]
	v_add_f64 v[76:77], v[78:79], v[76:77]
	v_mul_f64 v[78:79], v[108:109], s[42:43]
	v_fma_f64 v[82:83], v[152:153], s[18:19], -v[78:79]
	v_mul_f64 v[148:149], v[212:213], s[52:53]
	v_add_f64 v[80:81], v[82:83], v[80:81]
	v_fma_f64 v[82:83], s[0:1], v[158:159], v[148:149]
	v_mul_f64 v[172:173], v[220:221], s[52:53]
	v_add_f64 v[76:77], v[82:83], v[76:77]
	v_fma_f64 v[82:83], v[160:161], s[0:1], -v[172:173]
	v_mul_f64 v[156:157], v[226:227], s[28:29]
	v_add_f64 v[80:81], v[82:83], v[80:81]
	v_fma_f64 v[82:83], s[8:9], v[162:163], v[156:157]
	v_mul_f64 v[180:181], v[222:223], s[28:29]
	v_add_f64 v[82:83], v[82:83], v[76:77]
	v_fma_f64 v[76:77], v[166:167], s[8:9], -v[180:181]
	v_add_f64 v[80:81], v[76:77], v[80:81]
	v_mul_f64 v[76:77], v[238:239], s[48:49]
	v_fma_f64 v[84:85], s[26:27], v[170:171], v[76:77]
	v_mul_f64 v[184:185], v[234:235], s[48:49]
	s_mov_b32 s59, 0x3fe9895b
	s_mov_b32 s58, s40
	v_add_f64 v[82:83], v[84:85], v[82:83]
	v_fma_f64 v[84:85], v[174:175], s[26:27], -v[184:185]
	v_mul_f64 v[168:169], v[254:255], s[58:59]
	v_add_f64 v[80:81], v[84:85], v[80:81]
	v_fma_f64 v[84:85], s[20:21], v[178:179], v[168:169]
	v_mul_f64 v[186:187], v[250:251], s[58:59]
	v_add_f64 v[82:83], v[84:85], v[82:83]
	v_fma_f64 v[84:85], v[182:183], s[20:21], -v[186:187]
	v_mul_f64 v[176:177], v[122:123], s[50:51]
	v_add_f64 v[80:81], v[84:85], v[80:81]
	v_fma_f64 v[84:85], s[10:11], v[190:191], v[176:177]
	v_mul_f64 v[188:189], v[120:121], s[50:51]
	v_add_f64 v[130:131], v[84:85], v[82:83]
	v_fma_f64 v[82:83], v[200:201], s[10:11], -v[188:189]
	v_add_f64 v[132:133], v[82:83], v[80:81]
	s_waitcnt lgkmcnt(0)
	; wave barrier
	s_mov_b64 s[24:25], exec
	v_accvgpr_write_b32 a0, v192
	s_and_b64 s[60:61], s[24:25], s[4:5]
	v_accvgpr_write_b32 a1, v193
	s_mov_b64 exec, s[60:61]
	s_cbranch_execz .LBB0_7
; %bb.6:
	v_mul_f64 v[80:81], v[138:139], s[30:31]
	v_fma_f64 v[82:83], s[56:57], v[104:105], v[80:81]
	v_mul_f64 v[84:85], v[146:147], s[0:1]
	v_accvgpr_write_b32 a46, v86
	v_add_f64 v[82:83], v[10:11], v[82:83]
	v_accvgpr_write_b32 a47, v87
	v_fma_f64 v[86:87], s[22:23], v[106:107], v[84:85]
	v_add_f64 v[82:83], v[86:87], v[82:83]
	v_mul_f64 v[86:87], v[152:153], s[26:27]
	v_accvgpr_write_b32 a52, v88
	v_accvgpr_write_b32 a53, v89
	v_fma_f64 v[88:89], s[44:45], v[108:109], v[86:87]
	v_add_f64 v[82:83], v[88:89], v[82:83]
	v_mul_f64 v[88:89], v[160:161], s[10:11]
	v_accvgpr_write_b32 a48, v90
	;; [unrolled: 5-line block ×6, first 2 shown]
	v_accvgpr_write_b32 a63, v99
	v_fma_f64 v[98:99], s[30:31], v[136:137], v[96:97]
	v_mul_f64 v[192:193], v[102:103], s[52:53]
	v_add_f64 v[98:99], v[8:9], v[98:99]
	v_fma_f64 v[194:195], s[0:1], v[144:145], v[192:193]
	v_add_f64 v[98:99], v[194:195], v[98:99]
	v_mul_f64 v[194:195], v[110:111], s[48:49]
	v_accvgpr_write_b32 a42, v196
	v_accvgpr_write_b32 a43, v197
	;; [unrolled: 1-line block ×4, first 2 shown]
	v_fma_f64 v[196:197], s[26:27], v[150:151], v[194:195]
	v_add_f64 v[98:99], v[196:197], v[98:99]
	v_mul_f64 v[196:197], v[212:213], s[50:51]
	v_fma_f64 v[198:199], s[10:11], v[158:159], v[196:197]
	v_add_f64 v[98:99], v[198:199], v[98:99]
	v_mul_f64 v[198:199], v[226:227], s[40:41]
	v_accvgpr_write_b32 a68, v202
	v_accvgpr_write_b32 a69, v203
	v_fma_f64 v[202:203], s[20:21], v[162:163], v[198:199]
	v_add_f64 v[98:99], v[202:203], v[98:99]
	v_mul_f64 v[202:203], v[238:239], s[54:55]
	v_accvgpr_write_b32 a64, v204
	v_accvgpr_write_b32 a65, v205
	;; [unrolled: 5-line block ×4, first 2 shown]
	v_accvgpr_write_b32 a73, v215
	v_fma_f64 v[214:215], s[36:37], v[120:121], v[206:207]
	s_mov_b32 s61, 0x3fefdd0d
	s_mov_b32 s60, s36
	v_fmac_f64_e32 v[80:81], s[46:47], v[104:105]
	v_accvgpr_write_b32 a3, v3
	v_accvgpr_write_b32 a4, v4
	v_accvgpr_write_b32 a5, v5
	v_add_f64 v[4:5], v[214:215], v[82:83]
	v_mul_f64 v[214:215], v[122:123], s[60:61]
	v_fmac_f64_e32 v[84:85], s[52:53], v[106:107]
	v_add_f64 v[80:81], v[10:11], v[80:81]
	v_fma_f64 v[82:83], s[16:17], v[190:191], v[214:215]
	v_add_f64 v[80:81], v[84:85], v[80:81]
	v_fma_f64 v[84:85], v[136:137], s[30:31], -v[96:97]
	v_add_f64 v[2:3], v[82:83], v[98:99]
	v_fmac_f64_e32 v[86:87], s[48:49], v[108:109]
	v_fma_f64 v[82:83], v[144:145], s[0:1], -v[192:193]
	v_add_f64 v[84:85], v[8:9], v[84:85]
	v_add_f64 v[80:81], v[86:87], v[80:81]
	v_fmac_f64_e32 v[88:89], s[50:51], v[220:221]
	v_add_f64 v[82:83], v[82:83], v[84:85]
	v_fma_f64 v[84:85], v[150:151], s[26:27], -v[194:195]
	v_add_f64 v[80:81], v[88:89], v[80:81]
	v_fmac_f64_e32 v[90:91], s[40:41], v[222:223]
	v_add_f64 v[82:83], v[84:85], v[82:83]
	v_fma_f64 v[84:85], v[158:159], s[10:11], -v[196:197]
	;; [unrolled: 4-line block ×4, first 2 shown]
	v_accvgpr_write_b32 a41, v5
	v_add_f64 v[80:81], v[94:95], v[80:81]
	v_add_f64 v[82:83], v[84:85], v[82:83]
	v_fma_f64 v[84:85], v[178:179], s[18:19], -v[204:205]
	v_fmac_f64_e32 v[206:207], s[60:61], v[120:121]
	v_accvgpr_write_b32 a40, v4
	v_accvgpr_write_b32 a39, v3
	;; [unrolled: 1-line block ×3, first 2 shown]
	v_add_f64 v[84:85], v[84:85], v[82:83]
	v_add_f64 v[4:5], v[206:207], v[80:81]
	v_fma_f64 v[80:81], v[190:191], s[16:17], -v[214:215]
	v_mul_f64 v[88:89], v[138:139], s[26:27]
	v_add_f64 v[2:3], v[80:81], v[84:85]
	v_fma_f64 v[84:85], s[44:45], v[104:105], v[88:89]
	v_mul_f64 v[90:91], v[146:147], s[8:9]
	v_add_f64 v[84:85], v[10:11], v[84:85]
	v_fma_f64 v[86:87], s[28:29], v[106:107], v[90:91]
	;; [unrolled: 3-line block ×9, first 2 shown]
	v_add_f64 v[86:87], v[198:199], v[86:87]
	v_mul_f64 v[198:199], v[110:111], s[36:37]
	v_fma_f64 v[202:203], s[16:17], v[150:151], v[198:199]
	v_add_f64 v[86:87], v[202:203], v[86:87]
	v_mul_f64 v[202:203], v[212:213], s[58:59]
	v_fma_f64 v[204:205], s[20:21], v[158:159], v[202:203]
	;; [unrolled: 3-line block ×5, first 2 shown]
	v_mul_f64 v[82:83], v[200:201], s[18:19]
	v_accvgpr_write_b32 a78, v216
	v_accvgpr_write_b32 a57, v5
	v_add_f64 v[80:81], v[80:81], v[86:87]
	v_fma_f64 v[86:87], s[42:43], v[120:121], v[82:83]
	v_accvgpr_write_b32 a79, v217
	v_mul_f64 v[216:217], v[122:123], s[38:39]
	v_accvgpr_write_b32 a56, v4
	v_accvgpr_write_b32 a55, v3
	;; [unrolled: 1-line block ×3, first 2 shown]
	v_add_f64 v[4:5], v[86:87], v[84:85]
	v_fma_f64 v[84:85], s[18:19], v[190:191], v[216:217]
	v_fmac_f64_e32 v[88:89], s[48:49], v[104:105]
	v_add_f64 v[2:3], v[84:85], v[80:81]
	v_fmac_f64_e32 v[90:91], s[54:55], v[106:107]
	v_add_f64 v[80:81], v[10:11], v[88:89]
	v_add_f64 v[80:81], v[90:91], v[80:81]
	v_fma_f64 v[90:91], v[136:137], s[26:27], -v[194:195]
	v_fmac_f64_e32 v[92:93], s[36:37], v[108:109]
	v_fma_f64 v[88:89], v[144:145], s[8:9], -v[196:197]
	v_add_f64 v[90:91], v[8:9], v[90:91]
	v_add_f64 v[80:81], v[92:93], v[80:81]
	v_fmac_f64_e32 v[94:95], s[58:59], v[220:221]
	v_add_f64 v[88:89], v[88:89], v[90:91]
	v_fma_f64 v[90:91], v[150:151], s[16:17], -v[198:199]
	v_add_f64 v[80:81], v[94:95], v[80:81]
	v_fmac_f64_e32 v[96:97], s[22:23], v[222:223]
	v_add_f64 v[88:89], v[90:91], v[88:89]
	v_fma_f64 v[90:91], v[158:159], s[20:21], -v[202:203]
	;; [unrolled: 4-line block ×4, first 2 shown]
	v_add_f64 v[80:81], v[192:193], v[80:81]
	v_add_f64 v[88:89], v[90:91], v[88:89]
	v_fma_f64 v[90:91], v[178:179], s[10:11], -v[214:215]
	v_fmac_f64_e32 v[82:83], s[38:39], v[120:121]
	v_add_f64 v[88:89], v[90:91], v[88:89]
	v_add_f64 v[90:91], v[82:83], v[80:81]
	v_fma_f64 v[80:81], v[190:191], s[18:19], -v[216:217]
	v_add_f64 v[88:89], v[80:81], v[88:89]
	v_mul_f64 v[80:81], v[138:139], s[20:21]
	v_fma_f64 v[82:83], s[58:59], v[104:105], v[80:81]
	v_mul_f64 v[96:97], v[146:147], s[18:19]
	v_add_f64 v[82:83], v[10:11], v[82:83]
	v_fma_f64 v[92:93], s[38:39], v[106:107], v[96:97]
	v_mul_f64 v[98:99], v[152:153], s[0:1]
	v_add_f64 v[82:83], v[92:93], v[82:83]
	;; [unrolled: 3-line block ×10, first 2 shown]
	v_fma_f64 v[94:95], s[26:27], v[158:159], v[214:215]
	v_mul_f64 v[216:217], v[226:227], s[60:61]
	v_accvgpr_write_b32 a86, v218
	v_add_f64 v[92:93], v[94:95], v[92:93]
	v_fma_f64 v[94:95], s[16:17], v[162:163], v[216:217]
	v_accvgpr_write_b32 a87, v219
	v_mul_f64 v[218:219], v[238:239], s[34:35]
	v_accvgpr_write_b32 a80, v210
	v_add_f64 v[92:93], v[94:95], v[92:93]
	v_fma_f64 v[94:95], s[10:11], v[170:171], v[218:219]
	v_accvgpr_write_b32 a81, v211
	;; [unrolled: 5-line block ×3, first 2 shown]
	v_mul_f64 v[224:225], v[200:201], s[8:9]
	v_add_f64 v[92:93], v[94:95], v[92:93]
	v_fma_f64 v[94:95], s[28:29], v[120:121], v[224:225]
	v_add_f64 v[94:95], v[94:95], v[82:83]
	v_mul_f64 v[82:83], v[122:123], s[54:55]
	v_fmac_f64_e32 v[80:81], s[40:41], v[104:105]
	v_fma_f64 v[84:85], s[8:9], v[190:191], v[82:83]
	v_fmac_f64_e32 v[96:97], s[42:43], v[106:107]
	v_add_f64 v[80:81], v[10:11], v[80:81]
	v_fma_f64 v[86:87], v[136:137], s[20:21], -v[202:203]
	v_add_f64 v[92:93], v[84:85], v[92:93]
	v_add_f64 v[80:81], v[96:97], v[80:81]
	v_fmac_f64_e32 v[98:99], s[22:23], v[108:109]
	v_fma_f64 v[84:85], v[144:145], s[18:19], -v[204:205]
	v_add_f64 v[86:87], v[8:9], v[86:87]
	v_add_f64 v[80:81], v[98:99], v[80:81]
	v_fmac_f64_e32 v[192:193], s[48:49], v[220:221]
	v_add_f64 v[84:85], v[84:85], v[86:87]
	v_fma_f64 v[86:87], v[150:151], s[0:1], -v[206:207]
	v_add_f64 v[80:81], v[192:193], v[80:81]
	v_fmac_f64_e32 v[194:195], s[60:61], v[222:223]
	v_add_f64 v[84:85], v[86:87], v[84:85]
	v_fma_f64 v[86:87], v[158:159], s[26:27], -v[214:215]
	v_add_f64 v[80:81], v[194:195], v[80:81]
	v_fmac_f64_e32 v[196:197], s[34:35], v[234:235]
	v_add_f64 v[84:85], v[86:87], v[84:85]
	v_fma_f64 v[86:87], v[162:163], s[16:17], -v[216:217]
	v_add_f64 v[80:81], v[196:197], v[80:81]
	v_fmac_f64_e32 v[198:199], s[46:47], v[250:251]
	v_add_f64 v[84:85], v[86:87], v[84:85]
	v_fma_f64 v[86:87], v[170:171], s[10:11], -v[218:219]
	v_add_f64 v[80:81], v[198:199], v[80:81]
	v_add_f64 v[84:85], v[86:87], v[84:85]
	v_fma_f64 v[86:87], v[178:179], s[30:31], -v[210:211]
	v_fmac_f64_e32 v[224:225], s[54:55], v[120:121]
	v_add_f64 v[84:85], v[86:87], v[84:85]
	v_add_f64 v[98:99], v[224:225], v[80:81]
	v_fma_f64 v[80:81], v[190:191], s[8:9], -v[82:83]
	v_add_f64 v[96:97], v[80:81], v[84:85]
	v_mul_f64 v[80:81], v[138:139], s[18:19]
	v_fma_f64 v[82:83], s[42:43], v[104:105], v[80:81]
	v_mul_f64 v[84:85], v[146:147], s[26:27]
	v_add_f64 v[82:83], v[10:11], v[82:83]
	v_fma_f64 v[86:87], s[48:49], v[106:107], v[84:85]
	v_add_f64 v[82:83], v[86:87], v[82:83]
	v_mul_f64 v[86:87], v[152:153], s[10:11]
	v_fma_f64 v[192:193], s[34:35], v[108:109], v[86:87]
	v_add_f64 v[82:83], v[192:193], v[82:83]
	v_mul_f64 v[192:193], v[160:161], s[8:9]
	v_fma_f64 v[194:195], s[54:55], v[220:221], v[192:193]
	v_add_f64 v[82:83], v[194:195], v[82:83]
	v_mul_f64 v[194:195], v[166:167], s[30:31]
	v_fma_f64 v[196:197], s[56:57], v[222:223], v[194:195]
	v_add_f64 v[82:83], v[196:197], v[82:83]
	v_mul_f64 v[196:197], v[174:175], s[16:17]
	v_fma_f64 v[198:199], s[36:37], v[234:235], v[196:197]
	v_add_f64 v[82:83], v[198:199], v[82:83]
	v_mul_f64 v[198:199], v[182:183], s[0:1]
	v_fma_f64 v[202:203], s[52:53], v[250:251], v[198:199]
	v_mul_f64 v[204:205], v[100:101], s[38:39]
	v_add_f64 v[82:83], v[202:203], v[82:83]
	v_mul_f64 v[202:203], v[102:103], s[44:45]
	v_fma_f64 v[100:101], s[18:19], v[136:137], v[204:205]
	v_add_f64 v[100:101], v[8:9], v[100:101]
	v_fma_f64 v[102:103], s[26:27], v[144:145], v[202:203]
	v_mul_f64 v[110:111], v[110:111], s[50:51]
	v_fmac_f64_e32 v[80:81], s[38:39], v[104:105]
	v_add_f64 v[100:101], v[102:103], v[100:101]
	v_fma_f64 v[102:103], s[10:11], v[150:151], v[110:111]
	v_mul_f64 v[206:207], v[212:213], s[28:29]
	v_fmac_f64_e32 v[84:85], s[44:45], v[106:107]
	v_add_f64 v[80:81], v[10:11], v[80:81]
	v_add_f64 v[100:101], v[102:103], v[100:101]
	v_fma_f64 v[102:103], s[8:9], v[158:159], v[206:207]
	v_mul_f64 v[210:211], v[226:227], s[46:47]
	v_fmac_f64_e32 v[86:87], s[50:51], v[108:109]
	v_add_f64 v[80:81], v[84:85], v[80:81]
	v_add_f64 v[100:101], v[102:103], v[100:101]
	v_fma_f64 v[102:103], s[30:31], v[162:163], v[210:211]
	v_mul_f64 v[212:213], v[238:239], s[60:61]
	v_add_f64 v[80:81], v[86:87], v[80:81]
	v_fma_f64 v[86:87], v[136:137], s[18:19], -v[204:205]
	v_add_f64 v[100:101], v[102:103], v[100:101]
	v_fma_f64 v[102:103], s[16:17], v[170:171], v[212:213]
	v_mul_f64 v[214:215], v[254:255], s[22:23]
	v_fma_f64 v[84:85], v[144:145], s[26:27], -v[202:203]
	v_add_f64 v[86:87], v[8:9], v[86:87]
	v_add_f64 v[100:101], v[102:103], v[100:101]
	v_fma_f64 v[102:103], s[0:1], v[178:179], v[214:215]
	v_mul_f64 v[216:217], v[200:201], s[20:21]
	v_add_f64 v[84:85], v[84:85], v[86:87]
	v_fma_f64 v[86:87], v[150:151], s[10:11], -v[110:111]
	v_add_f64 v[100:101], v[102:103], v[100:101]
	v_fma_f64 v[102:103], s[58:59], v[120:121], v[216:217]
	v_fmac_f64_e32 v[216:217], s[40:41], v[120:121]
	v_add_f64 v[84:85], v[86:87], v[84:85]
	v_fma_f64 v[86:87], v[158:159], s[8:9], -v[206:207]
	v_mul_f64 v[110:111], v[152:153], s[18:19]
	v_mul_f64 v[120:121], v[138:139], s[16:17]
	v_add_f64 v[102:103], v[102:103], v[82:83]
	v_mul_f64 v[82:83], v[122:123], s[40:41]
	v_fmac_f64_e32 v[192:193], s[28:29], v[220:221]
	v_add_f64 v[84:85], v[86:87], v[84:85]
	v_fma_f64 v[86:87], v[162:163], s[30:31], -v[210:211]
	v_add_f64 v[78:79], v[78:79], v[110:111]
	v_mul_f64 v[110:111], v[146:147], s[30:31]
	v_add_f64 v[120:121], v[154:155], v[120:121]
	v_fma_f64 v[122:123], s[20:21], v[190:191], v[82:83]
	v_fmac_f64_e32 v[194:195], s[46:47], v[222:223]
	v_add_f64 v[80:81], v[192:193], v[80:81]
	v_add_f64 v[84:85], v[86:87], v[84:85]
	v_fma_f64 v[86:87], v[170:171], s[16:17], -v[212:213]
	v_add_f64 v[110:111], v[164:165], v[110:111]
	v_add_f64 v[120:121], v[10:11], v[120:121]
	;; [unrolled: 1-line block ×3, first 2 shown]
	v_fmac_f64_e32 v[196:197], s[60:61], v[234:235]
	v_add_f64 v[80:81], v[194:195], v[80:81]
	v_add_f64 v[84:85], v[86:87], v[84:85]
	v_fma_f64 v[86:87], v[178:179], s[0:1], -v[214:215]
	v_mul_f64 v[108:109], v[160:161], s[0:1]
	v_add_f64 v[110:111], v[110:111], v[120:121]
	v_mul_f64 v[122:123], v[136:137], s[16:17]
	v_fmac_f64_e32 v[198:199], s[22:23], v[250:251]
	v_add_f64 v[80:81], v[196:197], v[80:81]
	v_add_f64 v[84:85], v[86:87], v[84:85]
	v_mul_f64 v[86:87], v[166:167], s[8:9]
	v_add_f64 v[108:109], v[172:173], v[108:109]
	v_add_f64 v[78:79], v[78:79], v[110:111]
	v_mul_f64 v[120:121], v[144:145], s[30:31]
	v_add_f64 v[122:123], v[122:123], -v[134:135]
	v_add_f64 v[80:81], v[198:199], v[80:81]
	v_add_f64 v[86:87], v[180:181], v[86:87]
	;; [unrolled: 1-line block ×3, first 2 shown]
	v_mul_f64 v[110:111], v[150:151], s[18:19]
	v_add_f64 v[120:121], v[120:121], -v[140:141]
	v_add_f64 v[122:123], v[8:9], v[122:123]
	v_add_f64 v[106:107], v[216:217], v[80:81]
	v_fma_f64 v[80:81], v[190:191], s[20:21], -v[82:83]
	v_add_f64 v[78:79], v[86:87], v[78:79]
	v_mul_f64 v[86:87], v[170:171], s[26:27]
	v_mul_f64 v[108:109], v[158:159], s[0:1]
	v_add_f64 v[110:111], v[110:111], -v[142:143]
	v_add_f64 v[120:121], v[120:121], v[122:123]
	v_add_f64 v[104:105], v[80:81], v[84:85]
	v_mul_f64 v[84:85], v[174:175], s[26:27]
	v_add_f64 v[76:77], v[86:87], -v[76:77]
	v_mul_f64 v[86:87], v[162:163], s[8:9]
	v_add_f64 v[108:109], v[108:109], -v[148:149]
	v_add_f64 v[110:111], v[110:111], v[120:121]
	v_mul_f64 v[82:83], v[182:183], s[20:21]
	v_add_f64 v[84:85], v[184:185], v[84:85]
	v_add_f64 v[86:87], v[86:87], -v[156:157]
	v_add_f64 v[108:109], v[108:109], v[110:111]
	v_add_f64 v[82:83], v[186:187], v[82:83]
	;; [unrolled: 1-line block ×3, first 2 shown]
	v_mul_f64 v[84:85], v[178:179], s[20:21]
	v_add_f64 v[86:87], v[86:87], v[108:109]
	v_add_f64 v[78:79], v[82:83], v[78:79]
	v_mul_f64 v[82:83], v[190:191], s[10:11]
	v_add_f64 v[84:85], v[84:85], -v[168:169]
	v_add_f64 v[76:77], v[76:77], v[86:87]
	v_add_f64 v[82:83], v[82:83], -v[176:177]
	v_add_f64 v[76:77], v[84:85], v[76:77]
	v_add_f64 v[108:109], v[82:83], v[76:77]
	v_mul_f64 v[76:77], v[200:201], s[26:27]
	v_mul_f64 v[120:121], v[136:137], s[8:9]
	v_accvgpr_write_b32 a67, v1
	v_add_f64 v[76:77], v[124:125], v[76:77]
	v_mul_f64 v[124:125], v[144:145], s[20:21]
	v_add_f64 v[120:121], v[120:121], -v[6:7]
	v_accvgpr_write_b32 a66, v0
	v_mul_f64 v[142:143], v[150:151], s[30:31]
	v_add_f64 v[124:125], v[124:125], -v[228:229]
	v_add_f64 v[120:121], v[8:9], v[120:121]
	v_accvgpr_read_b32 v0, a36
	v_mul_f64 v[140:141], v[158:159], s[18:19]
	v_add_f64 v[142:143], v[142:143], -v[230:231]
	v_add_f64 v[120:121], v[124:125], v[120:121]
	v_mul_f64 v[168:169], v[200:201], s[0:1]
	v_accvgpr_read_b32 v1, a37
	v_add_f64 v[140:141], v[140:141], -v[232:233]
	v_add_f64 v[120:121], v[142:143], v[120:121]
	v_add_f64 v[168:169], v[0:1], v[168:169]
	v_accvgpr_read_b32 v0, a34
	v_mul_f64 v[82:83], v[166:167], s[10:11]
	v_mul_f64 v[84:85], v[160:161], s[18:19]
	;; [unrolled: 1-line block ×4, first 2 shown]
	v_add_f64 v[120:121], v[140:141], v[120:121]
	v_mul_f64 v[140:141], v[166:167], s[18:19]
	v_mul_f64 v[160:161], v[166:167], s[26:27]
	;; [unrolled: 1-line block ×3, first 2 shown]
	v_accvgpr_read_b32 v1, a35
	v_add_f64 v[82:83], v[114:115], v[82:83]
	v_mul_f64 v[114:115], v[138:139], s[8:9]
	v_add_f64 v[166:167], v[0:1], v[166:167]
	v_accvgpr_read_b32 v0, a32
	v_add_f64 v[84:85], v[112:113], v[84:85]
	v_mul_f64 v[112:113], v[146:147], s[20:21]
	v_add_f64 v[114:115], v[244:245], v[114:115]
	v_mul_f64 v[164:165], v[174:175], s[18:19]
	v_accvgpr_read_b32 v1, a33
	v_mul_f64 v[86:87], v[152:153], s[30:31]
	v_add_f64 v[112:113], v[246:247], v[112:113]
	v_add_f64 v[114:115], v[10:11], v[114:115]
	v_add_f64 v[164:165], v[0:1], v[164:165]
	v_accvgpr_read_b32 v0, a30
	v_mul_f64 v[80:81], v[200:201], s[10:11]
	v_add_f64 v[86:87], v[252:253], v[86:87]
	v_add_f64 v[112:113], v[112:113], v[114:115]
	v_accvgpr_read_b32 v1, a31
	v_add_f64 v[80:81], v[188:189], v[80:81]
	v_add_f64 v[86:87], v[86:87], v[112:113]
	;; [unrolled: 1-line block ×3, first 2 shown]
	v_accvgpr_read_b32 v0, a26
	v_add_f64 v[110:111], v[80:81], v[78:79]
	v_mul_f64 v[80:81], v[174:175], s[0:1]
	v_add_f64 v[84:85], v[84:85], v[86:87]
	v_accvgpr_read_b32 v1, a27
	v_add_f64 v[80:81], v[116:117], v[80:81]
	v_add_f64 v[82:83], v[82:83], v[84:85]
	;; [unrolled: 1-line block ×3, first 2 shown]
	v_accvgpr_read_b32 v0, a20
	v_mul_f64 v[86:87], v[144:145], s[10:11]
	v_add_f64 v[80:81], v[80:81], v[82:83]
	v_mul_f64 v[82:83], v[144:145], s[16:17]
	v_mul_f64 v[144:145], v[150:151], s[8:9]
	;; [unrolled: 1-line block ×4, first 2 shown]
	v_accvgpr_read_b32 v1, a21
	v_add_f64 v[150:151], v[0:1], v[150:151]
	v_accvgpr_read_b32 v0, a16
	v_mul_f64 v[78:79], v[182:183], s[16:17]
	v_mul_f64 v[122:123], v[146:147], s[16:17]
	v_accvgpr_read_b32 v1, a17
	v_add_f64 v[78:79], v[118:119], v[78:79]
	v_mul_f64 v[118:119], v[138:139], s[0:1]
	v_mul_f64 v[114:115], v[138:139], s[10:11]
	;; [unrolled: 1-line block ×3, first 2 shown]
	v_add_f64 v[122:123], v[0:1], v[122:123]
	v_accvgpr_read_b32 v0, a14
	v_mul_f64 v[116:117], v[136:137], s[0:1]
	v_mul_f64 v[112:113], v[136:137], s[10:11]
	;; [unrolled: 1-line block ×3, first 2 shown]
	v_add_f64 v[138:139], v[138:139], -v[236:237]
	v_accvgpr_read_b32 v1, a15
	v_mul_f64 v[134:135], v[178:179], s[16:17]
	v_add_f64 v[136:137], v[136:137], -v[240:241]
	v_add_f64 v[120:121], v[138:139], v[120:121]
	v_add_f64 v[114:115], v[0:1], v[114:115]
	v_accvgpr_read_b32 v0, a28
	v_add_f64 v[78:79], v[78:79], v[80:81]
	v_mul_f64 v[80:81], v[190:191], s[26:27]
	v_add_f64 v[134:135], v[134:135], -v[242:243]
	v_add_f64 v[120:121], v[136:137], v[120:121]
	v_mul_f64 v[136:137], v[174:175], s[20:21]
	v_mul_f64 v[174:175], v[190:191], s[0:1]
	v_add_f64 v[114:115], v[10:11], v[114:115]
	v_accvgpr_read_b32 v1, a29
	v_add_f64 v[80:81], v[80:81], -v[248:249]
	v_add_f64 v[120:121], v[134:135], v[120:121]
	v_add_f64 v[114:115], v[122:123], v[114:115]
	v_add_f64 v[122:123], v[174:175], -v[0:1]
	v_accvgpr_read_b32 v0, a24
	v_add_f64 v[78:79], v[76:77], v[78:79]
	v_add_f64 v[76:77], v[80:81], v[120:121]
	v_mul_f64 v[120:121], v[178:179], s[8:9]
	v_accvgpr_read_b32 v1, a25
	v_add_f64 v[120:121], v[120:121], -v[0:1]
	v_accvgpr_read_b32 v0, a22
	v_mul_f64 v[84:85], v[146:147], s[10:11]
	v_mul_f64 v[146:147], v[152:153], s[8:9]
	v_mul_f64 v[152:153], v[158:159], s[16:17]
	v_mul_f64 v[154:155], v[158:159], s[30:31]
	v_mul_f64 v[142:143], v[162:163], s[18:19]
	v_mul_f64 v[158:159], v[162:163], s[26:27]
	v_mul_f64 v[162:163], v[170:171], s[18:19]
	v_accvgpr_read_b32 v1, a23
	v_add_f64 v[114:115], v[150:151], v[114:115]
	v_add_f64 v[150:151], v[162:163], -v[0:1]
	v_accvgpr_read_b32 v0, a18
	v_accvgpr_read_b32 v1, a19
	v_add_f64 v[114:115], v[156:157], v[114:115]
	v_add_f64 v[156:157], v[158:159], -v[0:1]
	v_accvgpr_read_b32 v0, a12
	v_accvgpr_read_b32 v1, a13
	v_add_f64 v[154:155], v[154:155], -v[0:1]
	v_accvgpr_read_b32 v0, a10
	v_accvgpr_read_b32 v1, a11
	;; [unrolled: 3-line block ×4, first 2 shown]
	v_add_f64 v[112:113], v[112:113], -v[0:1]
	v_add_f64 v[112:113], v[8:9], v[112:113]
	v_add_f64 v[82:83], v[82:83], v[112:113]
	;; [unrolled: 1-line block ×6, first 2 shown]
	v_accvgpr_read_b32 v0, a66
	v_mul_f64 v[172:173], v[200:201], s[30:31]
	v_add_f64 v[82:83], v[120:121], v[82:83]
	v_accvgpr_read_b32 v1, a67
	v_add_f64 v[112:113], v[122:123], v[82:83]
	v_add_f64 v[82:83], v[0:1], v[172:173]
	v_accvgpr_read_b32 v0, a86
	v_mul_f64 v[80:81], v[182:183], s[26:27]
	v_accvgpr_read_b32 v1, a87
	v_add_f64 v[80:81], v[0:1], v[80:81]
	v_accvgpr_read_b32 v0, a72
	v_accvgpr_read_b32 v1, a73
	v_add_f64 v[120:121], v[0:1], v[136:137]
	v_accvgpr_read_b32 v0, a70
	;; [unrolled: 3-line block ×6, first 2 shown]
	v_accvgpr_read_b32 v1, a53
	v_add_f64 v[118:119], v[0:1], v[118:119]
	v_add_f64 v[118:119], v[10:11], v[118:119]
	;; [unrolled: 1-line block ×7, first 2 shown]
	v_accvgpr_read_b32 v0, a82
	v_mul_f64 v[138:139], v[170:171], s[20:21]
	v_mul_f64 v[170:171], v[190:191], s[30:31]
	v_add_f64 v[80:81], v[80:81], v[84:85]
	v_accvgpr_read_b32 v1, a83
	v_add_f64 v[118:119], v[82:83], v[80:81]
	v_add_f64 v[80:81], v[170:171], -v[0:1]
	v_accvgpr_read_b32 v0, a78
	v_mul_f64 v[134:135], v[178:179], s[26:27]
	v_accvgpr_read_b32 v1, a79
	v_add_f64 v[82:83], v[134:135], -v[0:1]
	v_accvgpr_read_b32 v0, a80
	v_accvgpr_read_b32 v1, a81
	v_add_f64 v[84:85], v[138:139], -v[0:1]
	v_accvgpr_read_b32 v0, a64
	;; [unrolled: 3-line block ×6, first 2 shown]
	v_accvgpr_read_b32 v1, a47
	v_add_f64 v[116:117], v[116:117], -v[0:1]
	v_add_f64 v[116:117], v[8:9], v[116:117]
	v_add_f64 v[10:11], v[10:11], v[14:15]
	;; [unrolled: 1-line block ×27, first 2 shown]
	v_accvgpr_read_b32 v193, a1
	v_add_f64 v[86:87], v[122:123], v[86:87]
	v_add_f64 v[10:11], v[10:11], v[62:63]
	;; [unrolled: 1-line block ×3, first 2 shown]
	v_accvgpr_write_b32 a77, v5
	v_accvgpr_read_b32 v192, a0
	v_add_f64 v[114:115], v[160:161], v[114:115]
	v_add_f64 v[86:87], v[120:121], v[86:87]
	;; [unrolled: 1-line block ×4, first 2 shown]
	v_accvgpr_write_b32 a76, v4
	v_accvgpr_write_b32 a75, v3
	;; [unrolled: 1-line block ×3, first 2 shown]
	v_accvgpr_read_b32 v199, a45
	v_accvgpr_read_b32 v2, a2
	v_add_f64 v[114:115], v[164:165], v[114:115]
	v_add_f64 v[84:85], v[84:85], v[86:87]
	;; [unrolled: 1-line block ×4, first 2 shown]
	v_mul_lo_u16_e32 v0, 17, v192
	v_accvgpr_read_b32 v198, a44
	v_accvgpr_read_b32 v197, a43
	;; [unrolled: 1-line block ×6, first 2 shown]
	v_add_f64 v[114:115], v[166:167], v[114:115]
	v_add_f64 v[82:83], v[82:83], v[84:85]
	;; [unrolled: 1-line block ×4, first 2 shown]
	v_lshlrev_b32_e32 v0, 4, v0
	v_add_f64 v[114:115], v[168:169], v[114:115]
	v_add_f64 v[116:117], v[80:81], v[82:83]
	ds_write_b128 v0, v[8:11]
	ds_write_b128 v0, v[116:119] offset:16
	ds_write_b128 v0, v[112:115] offset:32
	ds_write_b128 v0, v[76:79] offset:48
	ds_write_b128 v0, v[108:111] offset:64
	ds_write_b128 v0, v[104:107] offset:80
	ds_write_b128 v0, v[96:99] offset:96
	ds_write_b128 v0, v[88:91] offset:112
	ds_write_b128 v0, a[54:57] offset:128
	ds_write_b128 v0, a[38:41] offset:144
	ds_write_b128 v0, a[74:77] offset:160
	ds_write_b128 v0, v[92:95] offset:176
	ds_write_b128 v0, v[100:103] offset:192
	ds_write_b128 v0, v[130:133] offset:208
	ds_write_b128 v0, v[126:129] offset:224
	ds_write_b128 v0, a[2:5] offset:240
	ds_write_b128 v0, a[42:45] offset:256
.LBB0_7:
	s_or_b64 exec, exec, s[24:25]
	s_movk_i32 s0, 0xf1
	v_mul_lo_u16_sdwa v0, v192, s0 dst_sel:DWORD dst_unused:UNUSED_PAD src0_sel:BYTE_0 src1_sel:DWORD
	v_lshrrev_b16_e32 v90, 12, v0
	v_mul_lo_u16_e32 v0, 17, v90
	v_sub_u16_e32 v0, v192, v0
	v_and_b32_e32 v91, 0xff, v0
	v_mul_u32_u24_e32 v0, 12, v91
	v_lshlrev_b32_e32 v0, 4, v0
	s_load_dwordx4 s[8:11], s[2:3], 0x0
	s_waitcnt lgkmcnt(0)
	; wave barrier
	s_waitcnt lgkmcnt(0)
	global_load_dwordx4 v[20:23], v0, s[6:7]
	global_load_dwordx4 v[16:19], v0, s[6:7] offset:16
	global_load_dwordx4 v[12:15], v0, s[6:7] offset:32
	;; [unrolled: 1-line block ×11, first 2 shown]
	ds_read_b128 v[92:95], v208
	ds_read_b128 v[40:43], v208 offset:816
	ds_read_b128 v[64:67], v208 offset:1632
	ds_read_b128 v[72:75], v208 offset:2448
	ds_read_b128 v[80:83], v208 offset:3264
	ds_read_b128 v[96:99], v208 offset:4080
	ds_read_b128 v[100:103], v208 offset:4896
	ds_read_b128 v[104:107], v208 offset:5712
	ds_read_b128 v[108:111], v208 offset:6528
	ds_read_b128 v[112:115], v208 offset:7344
	ds_read_b128 v[116:119], v208 offset:8160
	ds_read_b128 v[120:123], v208 offset:8976
	ds_read_b128 v[134:137], v208 offset:9792
	s_mov_b32 s28, 0x42a4c3d2
	s_mov_b32 s38, 0x66966769
	;; [unrolled: 1-line block ×30, first 2 shown]
	v_mul_u32_u24_e32 v0, 0xdd, v90
	v_add_lshl_u32 v182, v0, v91, 4
	s_waitcnt lgkmcnt(0)
	; wave barrier
	s_waitcnt vmcnt(11) lgkmcnt(0)
	v_mul_f64 v[88:89], v[42:43], v[22:23]
	s_waitcnt vmcnt(10)
	v_mul_f64 v[138:139], v[66:67], v[18:19]
	v_fma_f64 v[166:167], v[40:41], v[20:21], -v[88:89]
	v_mul_f64 v[124:125], v[40:41], v[22:23]
	s_waitcnt vmcnt(9)
	v_mul_f64 v[142:143], v[74:75], v[14:15]
	v_fma_f64 v[138:139], v[64:65], v[16:17], -v[138:139]
	v_add_f64 v[40:41], v[92:93], v[166:167]
	v_mul_f64 v[140:141], v[64:65], v[18:19]
	s_waitcnt vmcnt(8)
	v_mul_f64 v[144:145], v[82:83], v[10:11]
	v_fmac_f64_e32 v[124:125], v[42:43], v[20:21]
	v_fma_f64 v[88:89], v[72:73], v[12:13], -v[142:143]
	v_add_f64 v[40:41], v[40:41], v[138:139]
	v_mul_f64 v[84:85], v[72:73], v[14:15]
	v_mul_f64 v[76:77], v[80:81], v[10:11]
	s_waitcnt vmcnt(7)
	v_mul_f64 v[146:147], v[98:99], v[38:39]
	v_fmac_f64_e32 v[140:141], v[66:67], v[16:17]
	v_fma_f64 v[80:81], v[80:81], v[8:9], -v[144:145]
	v_add_f64 v[42:43], v[94:95], v[124:125]
	v_add_f64 v[40:41], v[40:41], v[88:89]
	s_waitcnt vmcnt(6)
	v_mul_f64 v[148:149], v[102:103], v[186:187]
	v_fmac_f64_e32 v[84:85], v[74:75], v[12:13]
	v_fma_f64 v[72:73], v[96:97], v[36:37], -v[146:147]
	v_add_f64 v[42:43], v[42:43], v[140:141]
	v_add_f64 v[40:41], v[40:41], v[80:81]
	v_mul_f64 v[68:69], v[96:97], v[38:39]
	s_waitcnt vmcnt(5)
	v_mul_f64 v[150:151], v[106:107], v[30:31]
	v_fmac_f64_e32 v[76:77], v[82:83], v[8:9]
	v_fma_f64 v[64:65], v[100:101], v[184:185], -v[148:149]
	v_add_f64 v[42:43], v[42:43], v[84:85]
	v_add_f64 v[40:41], v[40:41], v[72:73]
	v_mul_f64 v[44:45], v[100:101], v[186:187]
	;; [unrolled: 7-line block ×6, first 2 shown]
	s_waitcnt vmcnt(0)
	v_mul_f64 v[162:163], v[136:137], v[50:51]
	v_mul_f64 v[164:165], v[134:135], v[50:51]
	v_fmac_f64_e32 v[78:79], v[114:115], v[60:61]
	v_fma_f64 v[98:99], v[120:121], v[52:53], -v[158:159]
	v_add_f64 v[42:43], v[42:43], v[70:71]
	v_add_f64 v[40:41], v[40:41], v[96:97]
	v_mul_f64 v[160:161], v[120:121], v[54:55]
	v_fmac_f64_e32 v[86:87], v[118:119], v[56:57]
	v_fma_f64 v[100:101], v[134:135], v[48:49], -v[162:163]
	v_fmac_f64_e32 v[164:165], v[136:137], v[48:49]
	v_add_f64 v[42:43], v[42:43], v[78:79]
	v_add_f64 v[40:41], v[40:41], v[98:99]
	v_fmac_f64_e32 v[160:161], v[122:123], v[52:53]
	v_add_f64 v[42:43], v[42:43], v[86:87]
	v_add_f64 v[40:41], v[40:41], v[100:101]
	;; [unrolled: 1-line block ×3, first 2 shown]
	v_add_f64 v[100:101], v[166:167], -v[100:101]
	v_add_f64 v[106:107], v[124:125], -v[164:165]
	v_add_f64 v[42:43], v[42:43], v[160:161]
	v_add_f64 v[104:105], v[124:125], v[164:165]
	v_mul_f64 v[108:109], v[106:107], s[18:19]
	v_mul_f64 v[112:113], v[100:101], s[18:19]
	;; [unrolled: 1-line block ×12, first 2 shown]
	v_add_f64 v[42:43], v[42:43], v[164:165]
	v_fma_f64 v[110:111], v[102:103], s[16:17], -v[108:109]
	v_fma_f64 v[114:115], s[16:17], v[104:105], v[112:113]
	v_fmac_f64_e32 v[108:109], s[16:17], v[102:103]
	v_fma_f64 v[112:113], v[104:105], s[16:17], -v[112:113]
	v_fma_f64 v[118:119], v[102:103], s[2:3], -v[116:117]
	v_fma_f64 v[122:123], s[2:3], v[104:105], v[120:121]
	v_fmac_f64_e32 v[116:117], s[2:3], v[102:103]
	v_fma_f64 v[120:121], v[104:105], s[2:3], -v[120:121]
	;; [unrolled: 4-line block ×6, first 2 shown]
	v_add_f64 v[104:105], v[140:141], -v[160:161]
	v_add_f64 v[110:111], v[92:93], v[110:111]
	v_add_f64 v[114:115], v[94:95], v[114:115]
	;; [unrolled: 1-line block ×25, first 2 shown]
	v_mul_f64 v[106:107], v[104:105], s[28:29]
	v_add_f64 v[98:99], v[138:139], -v[98:99]
	v_fma_f64 v[138:139], v[100:101], s[2:3], -v[106:107]
	v_add_f64 v[102:103], v[140:141], v[160:161]
	v_add_f64 v[110:111], v[138:139], v[110:111]
	v_mul_f64 v[138:139], v[98:99], s[28:29]
	v_fmac_f64_e32 v[106:107], s[2:3], v[100:101]
	v_add_f64 v[106:107], v[106:107], v[108:109]
	v_fma_f64 v[108:109], v[102:103], s[2:3], -v[138:139]
	v_add_f64 v[108:109], v[108:109], v[112:113]
	v_mul_f64 v[112:113], v[104:105], s[22:23]
	v_fma_f64 v[140:141], s[2:3], v[102:103], v[138:139]
	v_fma_f64 v[138:139], v[100:101], s[20:21], -v[112:113]
	v_add_f64 v[118:119], v[138:139], v[118:119]
	v_mul_f64 v[138:139], v[98:99], s[22:23]
	v_fmac_f64_e32 v[112:113], s[20:21], v[100:101]
	v_add_f64 v[112:113], v[112:113], v[116:117]
	v_fma_f64 v[116:117], v[102:103], s[20:21], -v[138:139]
	v_add_f64 v[116:117], v[116:117], v[120:121]
	v_mul_f64 v[120:121], v[104:105], s[36:37]
	v_add_f64 v[114:115], v[140:141], v[114:115]
	v_fma_f64 v[140:141], s[20:21], v[102:103], v[138:139]
	v_fma_f64 v[138:139], v[100:101], s[34:35], -v[120:121]
	v_add_f64 v[134:135], v[138:139], v[134:135]
	v_mul_f64 v[138:139], v[98:99], s[36:37]
	v_fmac_f64_e32 v[120:121], s[34:35], v[100:101]
	v_add_f64 v[120:121], v[120:121], v[124:125]
	v_fma_f64 v[124:125], v[102:103], s[34:35], -v[138:139]
	v_add_f64 v[122:123], v[140:141], v[122:123]
	v_fma_f64 v[140:141], s[34:35], v[102:103], v[138:139]
	v_add_f64 v[124:125], v[124:125], v[136:137]
	v_mul_f64 v[136:137], v[104:105], s[40:41]
	v_add_f64 v[140:141], v[140:141], v[142:143]
	v_fma_f64 v[138:139], v[100:101], s[24:25], -v[136:137]
	v_mul_f64 v[142:143], v[98:99], s[40:41]
	v_fmac_f64_e32 v[136:137], s[24:25], v[100:101]
	v_add_f64 v[138:139], v[138:139], v[146:147]
	v_fma_f64 v[146:147], s[24:25], v[102:103], v[142:143]
	v_add_f64 v[136:137], v[136:137], v[144:145]
	v_fma_f64 v[142:143], v[102:103], s[24:25], -v[142:143]
	v_mul_f64 v[144:145], v[104:105], s[30:31]
	v_add_f64 v[146:147], v[146:147], v[150:151]
	v_add_f64 v[142:143], v[142:143], v[148:149]
	v_fma_f64 v[148:149], v[100:101], s[0:1], -v[144:145]
	v_mul_f64 v[150:151], v[98:99], s[30:31]
	s_mov_b32 s19, 0x3fddbe06
	v_add_f64 v[148:149], v[148:149], v[154:155]
	v_fma_f64 v[154:155], s[0:1], v[102:103], v[150:151]
	v_fmac_f64_e32 v[144:145], s[0:1], v[100:101]
	v_fma_f64 v[150:151], v[102:103], s[0:1], -v[150:151]
	v_mul_f64 v[104:105], v[104:105], s[18:19]
	v_mul_f64 v[98:99], v[98:99], s[18:19]
	v_add_f64 v[144:145], v[144:145], v[152:153]
	v_add_f64 v[150:151], v[150:151], v[156:157]
	v_fma_f64 v[152:153], v[100:101], s[16:17], -v[104:105]
	v_fma_f64 v[156:157], s[16:17], v[102:103], v[98:99]
	v_fmac_f64_e32 v[104:105], s[16:17], v[100:101]
	v_fma_f64 v[98:99], v[102:103], s[16:17], -v[98:99]
	v_add_f64 v[100:101], v[84:85], v[86:87]
	v_add_f64 v[84:85], v[84:85], -v[86:87]
	v_add_f64 v[94:95], v[98:99], v[94:95]
	v_add_f64 v[98:99], v[88:89], v[96:97]
	v_add_f64 v[88:89], v[88:89], -v[96:97]
	v_mul_f64 v[86:87], v[84:85], s[38:39]
	v_fma_f64 v[96:97], v[98:99], s[0:1], -v[86:87]
	v_mul_f64 v[102:103], v[88:89], s[38:39]
	v_fmac_f64_e32 v[86:87], s[0:1], v[98:99]
	v_add_f64 v[92:93], v[104:105], v[92:93]
	v_fma_f64 v[104:105], s[0:1], v[100:101], v[102:103]
	v_add_f64 v[86:87], v[86:87], v[106:107]
	v_fma_f64 v[102:103], v[100:101], s[0:1], -v[102:103]
	v_mul_f64 v[106:107], v[84:85], s[36:37]
	v_add_f64 v[96:97], v[96:97], v[110:111]
	v_add_f64 v[102:103], v[102:103], v[108:109]
	v_fma_f64 v[108:109], v[98:99], s[34:35], -v[106:107]
	v_mul_f64 v[110:111], v[88:89], s[36:37]
	v_fmac_f64_e32 v[106:107], s[34:35], v[98:99]
	v_add_f64 v[104:105], v[104:105], v[114:115]
	v_fma_f64 v[114:115], s[34:35], v[100:101], v[110:111]
	v_add_f64 v[106:107], v[106:107], v[112:113]
	v_fma_f64 v[110:111], v[100:101], s[34:35], -v[110:111]
	v_mul_f64 v[112:113], v[84:85], s[42:43]
	v_add_f64 v[108:109], v[108:109], v[118:119]
	v_add_f64 v[110:111], v[110:111], v[116:117]
	;; [unrolled: 10-line block ×4, first 2 shown]
	v_fma_f64 v[140:141], v[98:99], s[2:3], -v[136:137]
	v_mul_f64 v[142:143], v[88:89], s[28:29]
	v_mul_f64 v[88:89], v[88:89], s[26:27]
	v_add_f64 v[140:141], v[140:141], v[148:149]
	v_fmac_f64_e32 v[136:137], s[2:3], v[98:99]
	v_mul_f64 v[84:85], v[84:85], s[26:27]
	v_fma_f64 v[148:149], s[24:25], v[100:101], v[88:89]
	v_fma_f64 v[88:89], v[100:101], s[24:25], -v[88:89]
	v_add_f64 v[136:137], v[136:137], v[144:145]
	v_fma_f64 v[144:145], v[98:99], s[24:25], -v[84:85]
	v_fmac_f64_e32 v[84:85], s[24:25], v[98:99]
	v_add_f64 v[88:89], v[88:89], v[94:95]
	v_add_f64 v[94:95], v[76:77], v[78:79]
	v_add_f64 v[76:77], v[76:77], -v[78:79]
	v_add_f64 v[84:85], v[84:85], v[92:93]
	v_add_f64 v[92:93], v[80:81], v[82:83]
	v_mul_f64 v[78:79], v[76:77], s[22:23]
	v_add_f64 v[80:81], v[80:81], -v[82:83]
	v_fma_f64 v[82:83], v[92:93], s[20:21], -v[78:79]
	v_add_f64 v[82:83], v[82:83], v[96:97]
	v_mul_f64 v[96:97], v[80:81], s[22:23]
	v_fmac_f64_e32 v[78:79], s[20:21], v[92:93]
	v_fma_f64 v[98:99], s[20:21], v[94:95], v[96:97]
	v_add_f64 v[78:79], v[78:79], v[86:87]
	v_fma_f64 v[86:87], v[94:95], s[20:21], -v[96:97]
	v_mul_f64 v[96:97], v[76:77], s[40:41]
	v_add_f64 v[138:139], v[138:139], v[146:147]
	v_fma_f64 v[146:147], s[2:3], v[100:101], v[142:143]
	v_fma_f64 v[142:143], v[100:101], s[2:3], -v[142:143]
	v_add_f64 v[86:87], v[86:87], v[102:103]
	v_fma_f64 v[100:101], v[92:93], s[24:25], -v[96:97]
	v_mul_f64 v[102:103], v[80:81], s[40:41]
	v_fmac_f64_e32 v[96:97], s[24:25], v[92:93]
	v_add_f64 v[98:99], v[98:99], v[104:105]
	v_fma_f64 v[104:105], s[24:25], v[94:95], v[102:103]
	v_add_f64 v[96:97], v[96:97], v[106:107]
	v_fma_f64 v[102:103], v[94:95], s[24:25], -v[102:103]
	v_mul_f64 v[106:107], v[76:77], s[18:19]
	v_add_f64 v[100:101], v[100:101], v[108:109]
	v_add_f64 v[102:103], v[102:103], v[110:111]
	v_fma_f64 v[108:109], v[92:93], s[16:17], -v[106:107]
	v_mul_f64 v[110:111], v[80:81], s[18:19]
	v_fmac_f64_e32 v[106:107], s[16:17], v[92:93]
	v_add_f64 v[104:105], v[104:105], v[114:115]
	v_fma_f64 v[114:115], s[16:17], v[94:95], v[110:111]
	v_add_f64 v[106:107], v[106:107], v[112:113]
	v_fma_f64 v[110:111], v[94:95], s[16:17], -v[110:111]
	v_mul_f64 v[112:113], v[76:77], s[38:39]
	v_add_f64 v[108:109], v[108:109], v[116:117]
	v_add_f64 v[110:111], v[110:111], v[118:119]
	v_fma_f64 v[116:117], v[92:93], s[0:1], -v[112:113]
	v_mul_f64 v[118:119], v[80:81], s[38:39]
	v_fmac_f64_e32 v[112:113], s[0:1], v[92:93]
	s_mov_b32 s41, 0x3fcea1e5
	s_mov_b32 s40, s36
	v_add_f64 v[114:115], v[114:115], v[122:123]
	v_fma_f64 v[122:123], s[0:1], v[94:95], v[118:119]
	v_add_f64 v[112:113], v[112:113], v[120:121]
	v_fma_f64 v[118:119], v[94:95], s[0:1], -v[118:119]
	v_mul_f64 v[120:121], v[76:77], s[40:41]
	s_mov_b32 s39, 0x3fea55e2
	s_mov_b32 s38, s28
	v_add_f64 v[116:117], v[116:117], v[124:125]
	v_add_f64 v[118:119], v[118:119], v[134:135]
	v_fma_f64 v[124:125], v[92:93], s[34:35], -v[120:121]
	v_mul_f64 v[134:135], v[80:81], s[40:41]
	v_mul_f64 v[80:81], v[80:81], s[38:39]
	v_add_f64 v[124:125], v[124:125], v[140:141]
	v_fmac_f64_e32 v[120:121], s[34:35], v[92:93]
	v_mul_f64 v[76:77], v[76:77], s[38:39]
	v_fma_f64 v[140:141], s[2:3], v[94:95], v[80:81]
	v_fma_f64 v[80:81], v[94:95], s[2:3], -v[80:81]
	v_add_f64 v[120:121], v[120:121], v[136:137]
	v_fma_f64 v[136:137], v[92:93], s[2:3], -v[76:77]
	v_fmac_f64_e32 v[76:77], s[2:3], v[92:93]
	v_add_f64 v[80:81], v[80:81], v[88:89]
	v_add_f64 v[88:89], v[68:69], v[70:71]
	v_add_f64 v[68:69], v[68:69], -v[70:71]
	v_add_f64 v[76:77], v[76:77], v[84:85]
	v_add_f64 v[84:85], v[72:73], v[74:75]
	v_mul_f64 v[70:71], v[68:69], s[26:27]
	v_add_f64 v[72:73], v[72:73], -v[74:75]
	v_fma_f64 v[74:75], v[84:85], s[24:25], -v[70:71]
	v_add_f64 v[74:75], v[74:75], v[82:83]
	v_mul_f64 v[82:83], v[72:73], s[26:27]
	v_fmac_f64_e32 v[70:71], s[24:25], v[84:85]
	v_fma_f64 v[92:93], s[24:25], v[88:89], v[82:83]
	v_add_f64 v[70:71], v[70:71], v[78:79]
	v_fma_f64 v[78:79], v[88:89], s[24:25], -v[82:83]
	v_mul_f64 v[82:83], v[68:69], s[30:31]
	v_add_f64 v[122:123], v[122:123], v[138:139]
	v_fma_f64 v[138:139], s[34:35], v[94:95], v[134:135]
	v_fma_f64 v[134:135], v[94:95], s[34:35], -v[134:135]
	v_add_f64 v[78:79], v[78:79], v[86:87]
	v_fma_f64 v[86:87], v[84:85], s[0:1], -v[82:83]
	v_mul_f64 v[94:95], v[72:73], s[30:31]
	v_fmac_f64_e32 v[82:83], s[0:1], v[84:85]
	v_add_f64 v[92:93], v[92:93], v[98:99]
	v_fma_f64 v[98:99], s[0:1], v[88:89], v[94:95]
	v_add_f64 v[82:83], v[82:83], v[96:97]
	v_mul_f64 v[96:97], v[68:69], s[28:29]
	v_add_f64 v[86:87], v[86:87], v[100:101]
	v_add_f64 v[100:101], v[98:99], v[104:105]
	v_fma_f64 v[94:95], v[88:89], s[0:1], -v[94:95]
	v_fma_f64 v[98:99], v[84:85], s[2:3], -v[96:97]
	v_add_f64 v[94:95], v[94:95], v[102:103]
	v_add_f64 v[102:103], v[98:99], v[108:109]
	v_mul_f64 v[98:99], v[72:73], s[28:29]
	v_fmac_f64_e32 v[96:97], s[2:3], v[84:85]
	v_add_f64 v[106:107], v[96:97], v[106:107]
	v_fma_f64 v[96:97], v[88:89], s[2:3], -v[98:99]
	v_add_f64 v[108:109], v[96:97], v[110:111]
	v_mul_f64 v[96:97], v[68:69], s[40:41]
	v_fma_f64 v[104:105], s[2:3], v[88:89], v[98:99]
	v_fma_f64 v[98:99], v[84:85], s[34:35], -v[96:97]
	v_add_f64 v[110:111], v[98:99], v[116:117]
	v_mul_f64 v[98:99], v[72:73], s[40:41]
	v_fmac_f64_e32 v[96:97], s[34:35], v[84:85]
	v_add_f64 v[112:113], v[96:97], v[112:113]
	v_fma_f64 v[96:97], v[88:89], s[34:35], -v[98:99]
	v_add_f64 v[116:117], v[96:97], v[118:119]
	v_mul_f64 v[96:97], v[68:69], s[18:19]
	v_add_f64 v[104:105], v[104:105], v[114:115]
	v_fma_f64 v[114:115], s[34:35], v[88:89], v[98:99]
	v_fma_f64 v[98:99], v[84:85], s[16:17], -v[96:97]
	v_add_f64 v[152:153], v[152:153], v[162:163]
	v_add_f64 v[142:143], v[142:143], v[150:151]
	;; [unrolled: 1-line block ×3, first 2 shown]
	v_mul_f64 v[98:99], v[72:73], s[18:19]
	v_fmac_f64_e32 v[96:97], s[16:17], v[84:85]
	v_add_f64 v[154:155], v[154:155], v[158:159]
	v_add_f64 v[156:157], v[156:157], v[164:165]
	;; [unrolled: 1-line block ×5, first 2 shown]
	v_fma_f64 v[96:97], v[88:89], s[16:17], -v[98:99]
	v_mul_f64 v[68:69], v[68:69], s[22:23]
	v_add_f64 v[146:147], v[146:147], v[154:155]
	v_add_f64 v[148:149], v[148:149], v[156:157]
	;; [unrolled: 1-line block ×4, first 2 shown]
	v_fma_f64 v[96:97], v[84:85], s[20:21], -v[68:69]
	v_mul_f64 v[72:73], v[72:73], s[22:23]
	v_add_f64 v[138:139], v[138:139], v[146:147]
	v_add_f64 v[140:141], v[140:141], v[148:149]
	;; [unrolled: 1-line block ×3, first 2 shown]
	v_fma_f64 v[96:97], s[20:21], v[88:89], v[72:73]
	v_add_f64 v[146:147], v[44:45], -v[46:47]
	v_add_f64 v[136:137], v[96:97], v[140:141]
	v_add_f64 v[140:141], v[64:65], v[66:67]
	v_add_f64 v[144:145], v[64:65], -v[66:67]
	v_mul_f64 v[64:65], v[146:147], s[36:37]
	v_add_f64 v[142:143], v[44:45], v[46:47]
	v_fma_f64 v[44:45], v[140:141], s[34:35], -v[64:65]
	v_mul_f64 v[66:67], v[144:145], s[36:37]
	v_fmac_f64_e32 v[64:65], s[34:35], v[140:141]
	v_add_f64 v[114:115], v[114:115], v[122:123]
	v_fma_f64 v[122:123], s[16:17], v[88:89], v[98:99]
	v_fmac_f64_e32 v[68:69], s[20:21], v[84:85]
	v_add_f64 v[96:97], v[64:65], v[70:71]
	v_fma_f64 v[64:65], v[142:143], s[34:35], -v[66:67]
	v_add_f64 v[122:123], v[122:123], v[138:139]
	v_add_f64 v[138:139], v[68:69], v[76:77]
	v_fma_f64 v[68:69], v[88:89], s[20:21], -v[72:73]
	v_add_f64 v[98:99], v[64:65], v[78:79]
	v_mul_f64 v[70:71], v[144:145], s[18:19]
	v_mul_f64 v[76:77], v[146:147], s[26:27]
	;; [unrolled: 1-line block ×4, first 2 shown]
	v_add_f64 v[88:89], v[68:69], v[80:81]
	v_add_f64 v[44:45], v[44:45], v[74:75]
	v_fma_f64 v[46:47], s[34:35], v[142:143], v[66:67]
	v_mul_f64 v[68:69], v[146:147], s[18:19]
	v_fma_f64 v[66:67], s[16:17], v[142:143], v[70:71]
	v_fma_f64 v[72:73], v[140:141], s[24:25], -v[76:77]
	v_fma_f64 v[74:75], s[24:25], v[142:143], v[78:79]
	v_fma_f64 v[78:79], v[142:143], s[24:25], -v[78:79]
	v_fma_f64 v[80:81], v[140:141], s[2:3], -v[84:85]
	;; [unrolled: 1-line block ×3, first 2 shown]
	v_add_f64 v[66:67], v[66:67], v[100:101]
	v_fma_f64 v[70:71], v[142:143], s[16:17], -v[70:71]
	v_add_f64 v[72:73], v[72:73], v[102:103]
	v_fmac_f64_e32 v[76:77], s[24:25], v[140:141]
	v_add_f64 v[78:79], v[78:79], v[108:109]
	v_add_f64 v[80:81], v[80:81], v[110:111]
	v_mul_f64 v[100:101], v[146:147], s[22:23]
	v_mul_f64 v[102:103], v[144:145], s[22:23]
	;; [unrolled: 1-line block ×4, first 2 shown]
	v_add_f64 v[46:47], v[46:47], v[92:93]
	v_add_f64 v[64:65], v[64:65], v[86:87]
	v_fmac_f64_e32 v[68:69], s[16:17], v[140:141]
	v_add_f64 v[70:71], v[70:71], v[94:95]
	v_add_f64 v[74:75], v[74:75], v[104:105]
	;; [unrolled: 1-line block ×3, first 2 shown]
	v_mul_f64 v[86:87], v[144:145], s[38:39]
	v_fma_f64 v[92:93], v[140:141], s[20:21], -v[100:101]
	v_fma_f64 v[94:95], s[20:21], v[142:143], v[102:103]
	v_fmac_f64_e32 v[100:101], s[20:21], v[140:141]
	v_fma_f64 v[102:103], v[142:143], s[20:21], -v[102:103]
	v_fma_f64 v[104:105], v[140:141], s[0:1], -v[108:109]
	v_fma_f64 v[106:107], s[0:1], v[142:143], v[110:111]
	v_fmac_f64_e32 v[108:109], s[0:1], v[140:141]
	v_fma_f64 v[110:111], v[142:143], s[0:1], -v[110:111]
	v_add_f64 v[68:69], v[68:69], v[82:83]
	v_fma_f64 v[82:83], s[2:3], v[142:143], v[86:87]
	v_fmac_f64_e32 v[84:85], s[2:3], v[140:141]
	v_fma_f64 v[86:87], v[142:143], s[2:3], -v[86:87]
	v_add_f64 v[100:101], v[100:101], v[120:121]
	v_add_f64 v[102:103], v[102:103], v[124:125]
	;; [unrolled: 1-line block ×11, first 2 shown]
	ds_write_b128 v182, v[40:43]
	ds_write_b128 v182, v[44:47] offset:272
	ds_write_b128 v182, v[64:67] offset:544
	;; [unrolled: 1-line block ×12, first 2 shown]
	s_waitcnt lgkmcnt(0)
	; wave barrier
	s_waitcnt lgkmcnt(0)
	ds_read_b128 v[100:103], v208
	ds_read_b128 v[104:107], v208 offset:816
	ds_read_b128 v[150:153], v208 offset:3536
	;; [unrolled: 1-line block ×11, first 2 shown]
	v_cmp_gt_u16_e64 s[2:3], 17, v192
	s_and_saveexec_b64 s[0:1], s[2:3]
	s_cbranch_execz .LBB0_9
; %bb.8:
	ds_read_b128 v[96:99], v208 offset:3264
	ds_read_b128 v[130:133], v208 offset:6800
	;; [unrolled: 1-line block ×3, first 2 shown]
.LBB0_9:
	s_or_b64 exec, exec, s[0:1]
	s_movk_i32 s16, 0xffef
	v_lshlrev_b32_e32 v0, 5, v192
	s_mov_b64 s[0:1], 0xcc
	s_mov_b32 s17, -1
	v_add_u32_e32 v1, 0x660, v0
	v_lshl_add_u64 v[40:41], v[192:193], 0, s[0:1]
	v_lshl_add_u64 v[42:43], v[192:193], 0, s[16:17]
	global_load_dwordx4 v[68:71], v0, s[6:7] offset:3264
	global_load_dwordx4 v[64:67], v0, s[6:7] offset:3280
	;; [unrolled: 1-line block ×4, first 2 shown]
	v_cndmask_b32_e64 v41, v43, v41, s[2:3]
	v_cndmask_b32_e64 v40, v42, v40, s[2:3]
	v_lshlrev_b64 v[40:41], 5, v[40:41]
	v_add_u32_e32 v1, 0xcc0, v0
	v_add_u32_e32 v0, 0x1320, v0
	v_lshl_add_u64 v[40:41], s[6:7], 0, v[40:41]
	global_load_dwordx4 v[84:87], v1, s[6:7] offset:3264
	global_load_dwordx4 v[80:83], v1, s[6:7] offset:3280
	;; [unrolled: 1-line block ×4, first 2 shown]
	global_load_dwordx4 v[204:207], v[40:41], off offset:3264
	global_load_dwordx4 v[200:203], v[40:41], off offset:3280
	s_mov_b32 s0, 0xe8584caa
	s_mov_b32 s1, 0x3febb67a
	;; [unrolled: 1-line block ×4, first 2 shown]
	s_waitcnt vmcnt(9) lgkmcnt(9)
	v_mul_f64 v[40:41], v[152:153], v[70:71]
	v_mul_f64 v[42:43], v[150:151], v[70:71]
	s_waitcnt vmcnt(8) lgkmcnt(7)
	v_mul_f64 v[44:45], v[156:157], v[66:67]
	v_mul_f64 v[46:47], v[154:155], v[66:67]
	v_fma_f64 v[40:41], v[150:151], v[68:69], -v[40:41]
	v_fmac_f64_e32 v[42:43], v[152:153], v[68:69]
	s_waitcnt vmcnt(7)
	v_mul_f64 v[124:125], v[118:119], v[78:79]
	s_waitcnt vmcnt(6) lgkmcnt(6)
	v_mul_f64 v[152:153], v[122:123], v[74:75]
	v_fma_f64 v[44:45], v[154:155], v[64:65], -v[44:45]
	v_fmac_f64_e32 v[46:47], v[156:157], v[64:65]
	v_mul_f64 v[150:151], v[116:117], v[78:79]
	v_mul_f64 v[154:155], v[120:121], v[74:75]
	v_fma_f64 v[172:173], v[116:117], v[76:77], -v[124:125]
	v_fma_f64 v[152:153], v[120:121], v[72:73], -v[152:153]
	v_add_f64 v[116:117], v[100:101], v[40:41]
	s_waitcnt vmcnt(3) lgkmcnt(2)
	v_mul_f64 v[166:167], v[134:135], v[94:95]
	v_fmac_f64_e32 v[150:151], v[118:119], v[76:77]
	v_fmac_f64_e32 v[154:155], v[122:123], v[72:73]
	v_add_f64 v[118:119], v[40:41], v[44:45]
	v_add_f64 v[122:123], v[42:43], -v[46:47]
	v_add_f64 v[120:121], v[102:103], v[42:43]
	v_add_f64 v[42:43], v[42:43], v[46:47]
	v_add_f64 v[40:41], v[40:41], -v[44:45]
	v_add_f64 v[116:117], v[116:117], v[44:45]
	v_add_f64 v[44:45], v[172:173], v[152:153]
	v_mul_f64 v[158:159], v[142:143], v[86:87]
	s_waitcnt lgkmcnt(1)
	v_mul_f64 v[160:161], v[148:149], v[82:83]
	v_mul_f64 v[164:165], v[136:137], v[94:95]
	v_fmac_f64_e32 v[166:167], v[136:137], v[92:93]
	v_fmac_f64_e32 v[102:103], -0.5, v[42:43]
	v_add_f64 v[42:43], v[104:105], v[172:173]
	s_waitcnt vmcnt(0) lgkmcnt(0)
	v_mul_f64 v[136:137], v[128:129], v[202:203]
	v_fmac_f64_e32 v[104:105], -0.5, v[44:45]
	v_add_f64 v[44:45], v[106:107], v[150:151]
	v_mul_f64 v[156:157], v[144:145], v[86:87]
	v_fmac_f64_e32 v[158:159], v[144:145], v[84:85]
	v_fma_f64 v[144:145], v[146:147], v[80:81], -v[160:161]
	v_mul_f64 v[160:161], v[126:127], v[202:203]
	v_add_f64 v[124:125], v[42:43], v[152:153]
	v_fma_f64 v[42:43], v[126:127], v[200:201], -v[136:137]
	v_add_f64 v[126:127], v[44:45], v[154:155]
	v_add_f64 v[44:45], v[150:151], v[154:155]
	v_mul_f64 v[162:163], v[146:147], v[82:83]
	v_fma_f64 v[142:143], v[142:143], v[84:85], -v[156:157]
	v_fma_f64 v[146:147], v[134:135], v[92:93], -v[164:165]
	v_fmac_f64_e32 v[100:101], -0.5, v[118:119]
	v_mul_f64 v[134:135], v[132:133], v[206:207]
	v_fmac_f64_e32 v[106:107], -0.5, v[44:45]
	v_add_f64 v[44:45], v[172:173], -v[152:153]
	v_add_f64 v[118:119], v[120:121], v[46:47]
	v_mul_f64 v[156:157], v[130:131], v[206:207]
	v_fma_f64 v[120:121], s[0:1], v[122:123], v[100:101]
	v_fmac_f64_e32 v[100:101], s[6:7], v[122:123]
	v_fma_f64 v[122:123], s[6:7], v[40:41], v[102:103]
	v_fmac_f64_e32 v[102:103], s[0:1], v[40:41]
	v_fma_f64 v[40:41], v[130:131], v[204:205], -v[134:135]
	v_fma_f64 v[130:131], s[6:7], v[44:45], v[106:107]
	v_fmac_f64_e32 v[106:107], s[0:1], v[44:45]
	v_add_f64 v[44:45], v[108:109], v[142:143]
	v_fmac_f64_e32 v[162:163], v[148:149], v[80:81]
	v_fmac_f64_e32 v[156:157], v[132:133], v[204:205]
	v_add_f64 v[132:133], v[44:45], v[144:145]
	v_add_f64 v[44:45], v[142:143], v[144:145]
	v_fmac_f64_e32 v[108:109], -0.5, v[44:45]
	v_add_f64 v[44:45], v[158:159], -v[162:163]
	v_fma_f64 v[136:137], s[0:1], v[44:45], v[108:109]
	v_fmac_f64_e32 v[108:109], s[6:7], v[44:45]
	v_add_f64 v[44:45], v[110:111], v[158:159]
	v_add_f64 v[134:135], v[44:45], v[162:163]
	;; [unrolled: 1-line block ×3, first 2 shown]
	v_mul_f64 v[168:169], v[140:141], v[90:91]
	v_fmac_f64_e32 v[110:111], -0.5, v[44:45]
	v_add_f64 v[44:45], v[142:143], -v[144:145]
	v_mul_f64 v[170:171], v[138:139], v[90:91]
	v_fma_f64 v[148:149], v[138:139], v[88:89], -v[168:169]
	v_fma_f64 v[138:139], s[6:7], v[44:45], v[110:111]
	v_fmac_f64_e32 v[110:111], s[0:1], v[44:45]
	v_add_f64 v[44:45], v[112:113], v[146:147]
	v_fmac_f64_e32 v[170:171], v[140:141], v[88:89]
	v_add_f64 v[140:141], v[44:45], v[148:149]
	v_add_f64 v[44:45], v[146:147], v[148:149]
	v_fmac_f64_e32 v[112:113], -0.5, v[44:45]
	v_add_f64 v[44:45], v[166:167], -v[170:171]
	v_fma_f64 v[144:145], s[0:1], v[44:45], v[112:113]
	v_fmac_f64_e32 v[112:113], s[6:7], v[44:45]
	v_add_f64 v[44:45], v[114:115], v[166:167]
	v_add_f64 v[142:143], v[44:45], v[170:171]
	;; [unrolled: 1-line block ×3, first 2 shown]
	v_fmac_f64_e32 v[114:115], -0.5, v[44:45]
	v_add_f64 v[44:45], v[146:147], -v[148:149]
	v_fma_f64 v[146:147], s[6:7], v[44:45], v[114:115]
	v_fmac_f64_e32 v[114:115], s[0:1], v[44:45]
	v_add_f64 v[44:45], v[96:97], v[40:41]
	v_fmac_f64_e32 v[160:161], v[128:129], v[200:201]
	v_add_f64 v[148:149], v[44:45], v[42:43]
	v_add_f64 v[44:45], v[40:41], v[42:43]
	v_fmac_f64_e32 v[96:97], -0.5, v[44:45]
	v_add_f64 v[44:45], v[156:157], -v[160:161]
	v_fma_f64 v[152:153], s[0:1], v[44:45], v[96:97]
	v_fmac_f64_e32 v[96:97], s[6:7], v[44:45]
	v_add_f64 v[44:45], v[98:99], v[156:157]
	v_add_f64 v[46:47], v[150:151], -v[154:155]
	v_add_f64 v[150:151], v[44:45], v[160:161]
	v_add_f64 v[44:45], v[156:157], v[160:161]
	v_fmac_f64_e32 v[98:99], -0.5, v[44:45]
	v_add_f64 v[40:41], v[40:41], -v[42:43]
	v_fma_f64 v[128:129], s[0:1], v[46:47], v[104:105]
	v_fmac_f64_e32 v[104:105], s[6:7], v[46:47]
	v_fma_f64 v[154:155], s[6:7], v[40:41], v[98:99]
	v_fmac_f64_e32 v[98:99], s[0:1], v[40:41]
	ds_write_b128 v208, v[116:119]
	ds_write_b128 v208, v[120:123] offset:3536
	ds_write_b128 v208, v[100:103] offset:7072
	;; [unrolled: 1-line block ×11, first 2 shown]
	s_and_saveexec_b64 s[0:1], s[2:3]
	s_cbranch_execz .LBB0_11
; %bb.10:
	ds_write_b128 v208, v[148:151] offset:3264
	ds_write_b128 v208, v[152:155] offset:6800
	;; [unrolled: 1-line block ×3, first 2 shown]
.LBB0_11:
	s_or_b64 exec, exec, s[0:1]
	s_waitcnt lgkmcnt(0)
	; wave barrier
	s_waitcnt lgkmcnt(0)
	s_and_saveexec_b64 s[0:1], s[4:5]
	s_cbranch_execz .LBB0_13
; %bb.12:
	v_mov_b32_e32 v209, 0
	v_lshl_add_u64 v[160:161], s[12:13], 0, v[208:209]
	v_add_co_u32_e32 v46, vcc, 0x2000, v160
	ds_read_b128 v[42:45], v208
	s_nop 0
	v_addc_co_u32_e32 v47, vcc, 0, v161, vcc
	global_load_dwordx4 v[156:159], v[46:47], off offset:2416
	s_mov_b64 s[6:7], 0x2970
	v_lshl_add_u64 v[40:41], v[160:161], 0, s[6:7]
	s_movk_i32 s6, 0x3000
	s_waitcnt vmcnt(0) lgkmcnt(0)
	v_mul_f64 v[46:47], v[44:45], v[158:159]
	v_mul_f64 v[164:165], v[42:43], v[158:159]
	v_fma_f64 v[162:163], v[42:43], v[156:157], -v[46:47]
	v_fmac_f64_e32 v[164:165], v[44:45], v[156:157]
	global_load_dwordx4 v[156:159], v[40:41], off offset:624
	ds_read_b128 v[42:45], v208 offset:624
	ds_write_b128 v208, v[162:165]
	s_waitcnt vmcnt(0) lgkmcnt(1)
	v_mul_f64 v[46:47], v[44:45], v[158:159]
	v_mul_f64 v[164:165], v[42:43], v[158:159]
	v_fma_f64 v[162:163], v[42:43], v[156:157], -v[46:47]
	v_fmac_f64_e32 v[164:165], v[44:45], v[156:157]
	global_load_dwordx4 v[156:159], v[40:41], off offset:1248
	ds_read_b128 v[42:45], v208 offset:1248
	ds_write_b128 v208, v[162:165] offset:624
	s_waitcnt vmcnt(0) lgkmcnt(1)
	v_mul_f64 v[46:47], v[44:45], v[158:159]
	v_mul_f64 v[164:165], v[42:43], v[158:159]
	v_fma_f64 v[162:163], v[42:43], v[156:157], -v[46:47]
	v_fmac_f64_e32 v[164:165], v[44:45], v[156:157]
	global_load_dwordx4 v[156:159], v[40:41], off offset:1872
	ds_read_b128 v[42:45], v208 offset:1872
	ds_write_b128 v208, v[162:165] offset:1248
	;; [unrolled: 8-line block ×5, first 2 shown]
	v_add_co_u32_e32 v162, vcc, s6, v160
	s_movk_i32 s6, 0x4000
	s_nop 0
	v_addc_co_u32_e32 v163, vcc, 0, v161, vcc
	s_waitcnt vmcnt(0) lgkmcnt(1)
	v_mul_f64 v[40:41], v[44:45], v[158:159]
	v_fma_f64 v[40:41], v[42:43], v[156:157], -v[40:41]
	v_mul_f64 v[42:43], v[42:43], v[158:159]
	v_fmac_f64_e32 v[42:43], v[44:45], v[156:157]
	global_load_dwordx4 v[44:47], v[162:163], off offset:2688
	ds_write_b128 v208, v[40:43] offset:3744
	ds_read_b128 v[40:43], v208 offset:4368
	s_waitcnt vmcnt(0) lgkmcnt(0)
	v_mul_f64 v[156:157], v[42:43], v[46:47]
	v_mul_f64 v[158:159], v[40:41], v[46:47]
	v_fma_f64 v[156:157], v[40:41], v[44:45], -v[156:157]
	v_fmac_f64_e32 v[158:159], v[42:43], v[44:45]
	global_load_dwordx4 v[44:47], v[162:163], off offset:3312
	ds_read_b128 v[40:43], v208 offset:4992
	ds_write_b128 v208, v[156:159] offset:4368
	s_waitcnt vmcnt(0) lgkmcnt(1)
	v_mul_f64 v[156:157], v[42:43], v[46:47]
	v_mul_f64 v[158:159], v[40:41], v[46:47]
	v_fma_f64 v[156:157], v[40:41], v[44:45], -v[156:157]
	v_fmac_f64_e32 v[158:159], v[42:43], v[44:45]
	global_load_dwordx4 v[44:47], v[162:163], off offset:3936
	ds_read_b128 v[40:43], v208 offset:5616
	v_add_co_u32_e32 v162, vcc, s6, v160
	ds_write_b128 v208, v[156:159] offset:4992
	s_nop 0
	v_addc_co_u32_e32 v163, vcc, 0, v161, vcc
	s_movk_i32 s6, 0x5000
	s_waitcnt vmcnt(0) lgkmcnt(1)
	v_mul_f64 v[156:157], v[42:43], v[46:47]
	v_mul_f64 v[158:159], v[40:41], v[46:47]
	v_fma_f64 v[156:157], v[40:41], v[44:45], -v[156:157]
	v_fmac_f64_e32 v[158:159], v[42:43], v[44:45]
	global_load_dwordx4 v[44:47], v[162:163], off offset:464
	ds_read_b128 v[40:43], v208 offset:6240
	ds_write_b128 v208, v[156:159] offset:5616
	s_waitcnt vmcnt(0) lgkmcnt(1)
	v_mul_f64 v[156:157], v[42:43], v[46:47]
	v_mul_f64 v[158:159], v[40:41], v[46:47]
	v_fma_f64 v[156:157], v[40:41], v[44:45], -v[156:157]
	v_fmac_f64_e32 v[158:159], v[42:43], v[44:45]
	global_load_dwordx4 v[44:47], v[162:163], off offset:1088
	ds_read_b128 v[40:43], v208 offset:6864
	ds_write_b128 v208, v[156:159] offset:6240
	;; [unrolled: 8-line block ×6, first 2 shown]
	s_waitcnt vmcnt(0) lgkmcnt(1)
	v_mul_f64 v[156:157], v[42:43], v[46:47]
	v_fma_f64 v[156:157], v[40:41], v[44:45], -v[156:157]
	v_mul_f64 v[158:159], v[40:41], v[46:47]
	v_add_co_u32_e32 v40, vcc, s6, v160
	v_fmac_f64_e32 v[158:159], v[42:43], v[44:45]
	s_nop 0
	v_addc_co_u32_e32 v41, vcc, 0, v161, vcc
	global_load_dwordx4 v[160:163], v[40:41], off offset:112
	ds_write_b128 v208, v[156:159] offset:9360
	ds_read_b128 v[156:159], v208 offset:9984
	s_waitcnt vmcnt(0) lgkmcnt(0)
	v_mul_f64 v[40:41], v[158:159], v[162:163]
	v_mul_f64 v[42:43], v[156:157], v[162:163]
	v_fma_f64 v[40:41], v[156:157], v[160:161], -v[40:41]
	v_fmac_f64_e32 v[42:43], v[158:159], v[160:161]
	ds_write_b128 v208, v[40:43] offset:9984
.LBB0_13:
	s_or_b64 exec, exec, s[0:1]
	s_waitcnt lgkmcnt(0)
	; wave barrier
	s_waitcnt lgkmcnt(0)
	s_and_saveexec_b64 s[0:1], s[4:5]
	s_cbranch_execz .LBB0_15
; %bb.14:
	ds_read_b128 v[116:119], v208
	ds_read_b128 v[120:123], v208 offset:624
	ds_read_b128 v[100:103], v208 offset:1248
	ds_read_b128 v[124:127], v208 offset:1872
	ds_read_b128 v[128:131], v208 offset:2496
	ds_read_b128 v[104:107], v208 offset:3120
	ds_read_b128 v[132:135], v208 offset:3744
	ds_read_b128 v[136:139], v208 offset:4368
	ds_read_b128 v[108:111], v208 offset:4992
	ds_read_b128 v[140:143], v208 offset:5616
	ds_read_b128 v[144:147], v208 offset:6240
	ds_read_b128 v[112:115], v208 offset:6864
	ds_read_b128 v[148:151], v208 offset:7488
	ds_read_b128 v[152:155], v208 offset:8112
	ds_read_b128 v[96:99], v208 offset:8736
	ds_read_b128 v[2:5], v208 offset:9360
	ds_read_b128 v[196:199], v208 offset:9984
.LBB0_15:
	s_or_b64 exec, exec, s[0:1]
	s_mov_b32 s22, 0xeb564b22
	s_waitcnt lgkmcnt(0)
	v_add_f64 v[220:221], v[122:123], -v[198:199]
	s_mov_b32 s18, 0x7c9e640b
	s_mov_b32 s6, 0x3259b75e
	s_mov_b32 s23, 0xbfefdd0d
	v_add_f64 v[216:217], v[122:123], v[198:199]
	s_mov_b32 s0, 0x2b2883cd
	s_mov_b32 s19, 0xbfeca52d
	;; [unrolled: 1-line block ×3, first 2 shown]
	v_mul_f64 v[32:33], v[220:221], s[22:23]
	s_mov_b32 s28, 0x6c9a05f6
	v_add_f64 v[214:215], v[120:121], v[196:197]
	s_mov_b32 s1, 0x3fdc86fa
	v_mul_f64 v[0:1], v[220:221], s[18:19]
	v_mul_f64 v[34:35], v[216:217], s[6:7]
	v_accvgpr_write_b32 a20, v32
	v_add_f64 v[228:229], v[102:103], -v[4:5]
	s_mov_b32 s16, 0x6ed5f1bb
	s_mov_b32 s29, 0xbfe9895b
	v_add_f64 v[224:225], v[120:121], -v[196:197]
	v_mul_f64 v[6:7], v[216:217], s[0:1]
	v_fma_f64 v[40:41], v[214:215], s[0:1], -v[0:1]
	v_accvgpr_write_b32 a21, v33
	v_fma_f64 v[44:45], v[214:215], s[6:7], -v[32:33]
	v_accvgpr_write_b32 a8, v34
	v_add_f64 v[218:219], v[100:101], v[2:3]
	v_add_f64 v[222:223], v[102:103], v[4:5]
	s_mov_b32 s17, 0xbfe348c8
	v_mul_f64 v[32:33], v[228:229], s[28:29]
	v_add_f64 v[40:41], v[116:117], v[40:41]
	v_fma_f64 v[42:43], s[18:19], v[224:225], v[6:7]
	v_accvgpr_write_b32 a9, v35
	v_fma_f64 v[46:47], s[22:23], v[224:225], v[34:35]
	v_add_f64 v[234:235], v[100:101], -v[2:3]
	v_mul_f64 v[34:35], v[222:223], s[16:17]
	v_fma_f64 v[156:157], v[218:219], s[16:17], -v[32:33]
	s_mov_b32 s34, 0xacd6c6b4
	v_add_f64 v[42:43], v[118:119], v[42:43]
	v_add_f64 v[40:41], v[156:157], v[40:41]
	v_fma_f64 v[156:157], s[28:29], v[234:235], v[34:35]
	s_mov_b32 s35, 0xbfc7851a
	v_add_f64 v[42:43], v[156:157], v[42:43]
	s_mov_b32 s20, 0x7faef3
	v_mul_f64 v[156:157], v[228:229], s[34:35]
	s_mov_b32 s21, 0xbfef7484
	v_accvgpr_write_b32 a16, v156
	v_add_f64 v[44:45], v[116:117], v[44:45]
	v_mul_f64 v[158:159], v[222:223], s[20:21]
	v_accvgpr_write_b32 a17, v157
	v_fma_f64 v[156:157], v[218:219], s[20:21], -v[156:157]
	v_add_f64 v[236:237], v[126:127], -v[98:99]
	s_mov_b32 s51, 0x3fc7851a
	s_mov_b32 s50, s34
	v_add_f64 v[46:47], v[118:119], v[46:47]
	v_add_f64 v[44:45], v[156:157], v[44:45]
	v_accvgpr_write_b32 a10, v158
	v_fma_f64 v[156:157], s[34:35], v[234:235], v[158:159]
	v_add_f64 v[226:227], v[124:125], v[96:97]
	v_add_f64 v[230:231], v[126:127], v[98:99]
	v_mul_f64 v[192:193], v[236:237], s[50:51]
	v_accvgpr_write_b32 a11, v159
	v_add_f64 v[46:47], v[156:157], v[46:47]
	v_add_f64 v[242:243], v[124:125], -v[96:97]
	v_mul_f64 v[158:159], v[230:231], s[20:21]
	v_fma_f64 v[156:157], v[226:227], s[20:21], -v[192:193]
	s_mov_b32 s44, 0x923c349f
	v_add_f64 v[40:41], v[156:157], v[40:41]
	v_fma_f64 v[156:157], s[50:51], v[242:243], v[158:159]
	s_mov_b32 s45, 0x3feec746
	v_add_f64 v[42:43], v[156:157], v[42:43]
	s_mov_b32 s26, 0xc61f0d01
	v_mul_f64 v[156:157], v[236:237], s[44:45]
	v_accvgpr_write_b32 a22, v158
	s_mov_b32 s27, 0xbfd183b1
	v_accvgpr_write_b32 a12, v156
	v_accvgpr_write_b32 a23, v159
	v_mul_f64 v[158:159], v[230:231], s[26:27]
	v_accvgpr_write_b32 a13, v157
	v_fma_f64 v[156:157], v[226:227], s[26:27], -v[156:157]
	v_add_f64 v[44:45], v[156:157], v[44:45]
	v_fma_f64 v[156:157], s[44:45], v[242:243], v[158:159]
	v_add_f64 v[244:245], v[130:131], -v[154:155]
	v_add_f64 v[46:47], v[156:157], v[46:47]
	v_mul_f64 v[156:157], v[244:245], s[44:45]
	v_accvgpr_write_b32 a18, v158
	v_add_f64 v[232:233], v[128:129], v[152:153]
	v_add_f64 v[238:239], v[130:131], v[154:155]
	v_accvgpr_write_b32 a24, v156
	v_accvgpr_write_b32 a19, v159
	v_add_f64 v[250:251], v[128:129], -v[152:153]
	v_mul_f64 v[158:159], v[238:239], s[26:27]
	v_accvgpr_write_b32 a25, v157
	v_fma_f64 v[156:157], v[232:233], s[26:27], -v[156:157]
	s_mov_b32 s46, 0x5d8e7cdc
	v_add_f64 v[156:157], v[156:157], v[40:41]
	v_fma_f64 v[40:41], s[44:45], v[250:251], v[158:159]
	s_mov_b32 s30, 0x370991
	s_mov_b32 s47, 0x3fd71e95
	v_accvgpr_write_b32 a26, v158
	v_add_f64 v[42:43], v[40:41], v[42:43]
	s_mov_b32 s31, 0x3fedd6d0
	v_mul_f64 v[40:41], v[244:245], s[46:47]
	s_mov_b32 s52, 0x2a9d6da3
	v_accvgpr_write_b32 a27, v159
	v_mul_f64 v[160:161], v[238:239], s[30:31]
	v_accvgpr_write_b32 a14, v40
	v_fma_f64 v[158:159], v[232:233], s[30:31], -v[40:41]
	v_add_f64 v[252:253], v[106:107], -v[150:151]
	s_mov_b32 s36, 0x75d4884
	s_mov_b32 s53, 0x3fe58eea
	v_accvgpr_write_b32 a15, v41
	v_add_f64 v[158:159], v[158:159], v[44:45]
	v_accvgpr_write_b32 a74, v160
	v_fma_f64 v[44:45], s[46:47], v[250:251], v[160:161]
	v_add_f64 v[240:241], v[104:105], v[148:149]
	v_add_f64 v[246:247], v[106:107], v[150:151]
	s_mov_b32 s37, 0x3fe7a5f6
	v_mul_f64 v[40:41], v[252:253], s[52:53]
	v_accvgpr_write_b32 a75, v161
	v_add_f64 v[46:47], v[44:45], v[46:47]
	v_add_f64 v[164:165], v[104:105], -v[148:149]
	v_mul_f64 v[160:161], v[246:247], s[36:37]
	v_fma_f64 v[44:45], v[240:241], s[36:37], -v[40:41]
	v_add_f64 v[156:157], v[44:45], v[156:157]
	v_fma_f64 v[44:45], s[52:53], v[164:165], v[160:161]
	v_accvgpr_write_b32 a60, v160
	v_add_f64 v[42:43], v[44:45], v[42:43]
	v_mul_f64 v[44:45], v[252:253], s[18:19]
	v_accvgpr_write_b32 a61, v161
	v_mul_f64 v[162:163], v[246:247], s[0:1]
	v_accvgpr_write_b32 a71, v45
	v_fma_f64 v[160:161], v[240:241], s[0:1], -v[44:45]
	v_add_f64 v[166:167], v[134:135], -v[114:115]
	s_mov_b32 s41, 0xbfd71e95
	s_mov_b32 s40, s46
	v_accvgpr_write_b32 a70, v44
	v_add_f64 v[158:159], v[160:161], v[158:159]
	v_accvgpr_write_b32 a78, v162
	v_fma_f64 v[160:161], s[18:19], v[164:165], v[162:163]
	v_add_f64 v[248:249], v[132:133], v[112:113]
	v_add_f64 v[254:255], v[134:135], v[114:115]
	v_mul_f64 v[44:45], v[166:167], s[40:41]
	v_accvgpr_write_b32 a79, v163
	v_add_f64 v[46:47], v[160:161], v[46:47]
	v_add_f64 v[172:173], v[132:133], -v[112:113]
	v_mul_f64 v[162:163], v[254:255], s[30:31]
	v_fma_f64 v[160:161], v[248:249], s[30:31], -v[44:45]
	s_mov_b32 s38, 0x910ea3b9
	s_mov_b32 s42, 0x4363dd80
	v_add_f64 v[156:157], v[160:161], v[156:157]
	v_fma_f64 v[160:161], s[40:41], v[172:173], v[162:163]
	s_mov_b32 s39, 0xbfeb34fa
	s_mov_b32 s43, 0xbfe0d888
	v_accvgpr_write_b32 a62, v162
	v_add_f64 v[160:161], v[160:161], v[42:43]
	v_mul_f64 v[42:43], v[166:167], s[42:43]
	v_mul_f64 v[168:169], v[254:255], s[38:39]
	v_accvgpr_write_b32 a63, v163
	v_accvgpr_write_b32 a77, v43
	v_fma_f64 v[162:163], v[248:249], s[38:39], -v[42:43]
	v_accvgpr_write_b32 a100, v168
	v_add_f64 v[174:175], v[138:139], -v[146:147]
	v_accvgpr_write_b32 a76, v42
	v_add_f64 v[158:159], v[162:163], v[158:159]
	v_accvgpr_write_b32 a101, v169
	v_fma_f64 v[162:163], s[42:43], v[172:173], v[168:169]
	v_add_f64 v[210:211], v[136:137], v[144:145]
	v_add_f64 v[168:169], v[138:139], v[146:147]
	v_mul_f64 v[42:43], v[174:175], s[22:23]
	v_add_f64 v[162:163], v[162:163], v[46:47]
	v_add_f64 v[178:179], v[136:137], -v[144:145]
	v_mul_f64 v[170:171], v[168:169], s[6:7]
	v_fma_f64 v[46:47], v[210:211], s[6:7], -v[42:43]
	v_add_f64 v[156:157], v[46:47], v[156:157]
	v_accvgpr_write_b32 a68, v170
	v_fma_f64 v[46:47], s[22:23], v[178:179], v[170:171]
	s_mov_b32 s57, 0x3fe9895b
	s_mov_b32 s56, s28
	v_accvgpr_write_b32 a69, v171
	v_add_f64 v[188:189], v[46:47], v[160:161]
	v_mul_f64 v[46:47], v[174:175], s[56:57]
	v_mul_f64 v[170:171], v[168:169], s[16:17]
	v_accvgpr_write_b32 a83, v47
	v_fma_f64 v[160:161], v[210:211], s[16:17], -v[46:47]
	v_accvgpr_write_b32 a104, v170
	v_add_f64 v[176:177], v[110:111], -v[142:143]
	v_accvgpr_write_b32 a82, v46
	v_add_f64 v[158:159], v[160:161], v[158:159]
	v_accvgpr_write_b32 a105, v171
	v_fma_f64 v[160:161], s[56:57], v[178:179], v[170:171]
	v_add_f64 v[170:171], v[108:109], v[140:141]
	v_add_f64 v[212:213], v[110:111], v[142:143]
	v_mul_f64 v[46:47], v[176:177], s[42:43]
	v_add_f64 v[190:191], v[160:161], v[162:163]
	v_add_f64 v[180:181], v[108:109], -v[140:141]
	v_mul_f64 v[162:163], v[212:213], s[38:39]
	v_fma_f64 v[160:161], v[170:171], s[38:39], -v[46:47]
	v_add_f64 v[160:161], v[160:161], v[156:157]
	v_accvgpr_write_b32 a72, v162
	v_fma_f64 v[156:157], s[42:43], v[180:181], v[162:163]
	v_accvgpr_write_b32 a73, v163
	v_add_f64 v[162:163], v[156:157], v[188:189]
	v_mul_f64 v[188:189], v[176:177], s[52:53]
	v_mul_f64 v[194:195], v[212:213], s[36:37]
	v_fma_f64 v[156:157], v[170:171], s[36:37], -v[188:189]
	v_add_f64 v[156:157], v[156:157], v[158:159]
	v_accvgpr_write_b32 a112, v194
	v_fma_f64 v[158:159], s[52:53], v[180:181], v[194:195]
	v_accvgpr_write_b32 a113, v195
	v_add_f64 v[158:159], v[158:159], v[190:191]
	s_waitcnt lgkmcnt(0)
	; wave barrier
	s_and_saveexec_b64 s[24:25], s[4:5]
	s_cbranch_execz .LBB0_17
; %bb.16:
	v_accvgpr_write_b32 a93, v45
	v_accvgpr_write_b32 a91, v41
	;; [unrolled: 1-line block ×3, first 2 shown]
	v_mul_f64 v[44:45], v[224:225], s[34:35]
	v_accvgpr_write_b32 a97, v47
	v_accvgpr_write_b32 a28, v184
	;; [unrolled: 1-line block ×3, first 2 shown]
	v_mul_f64 v[40:41], v[234:235], s[46:47]
	v_accvgpr_write_b32 a95, v43
	v_accvgpr_write_b32 a96, v46
	v_fma_f64 v[46:47], s[20:21], v[216:217], v[44:45]
	v_accvgpr_write_b32 a51, v5
	v_accvgpr_write_b32 a29, v185
	;; [unrolled: 1-line block ×4, first 2 shown]
	v_mul_f64 v[184:185], v[242:243], s[42:43]
	v_accvgpr_write_b32 a94, v42
	v_fma_f64 v[42:43], s[30:31], v[222:223], v[40:41]
	v_add_f64 v[46:47], v[118:119], v[46:47]
	v_accvgpr_write_b32 a50, v4
	v_accvgpr_write_b32 a49, v3
	;; [unrolled: 1-line block ×4, first 2 shown]
	v_mul_f64 v[4:5], v[250:251], s[52:53]
	v_accvgpr_write_b32 a99, v7
	v_fma_f64 v[186:187], s[38:39], v[230:231], v[184:185]
	v_add_f64 v[42:43], v[42:43], v[46:47]
	s_mov_b32 s54, s18
	v_accvgpr_write_b32 a44, v196
	v_mul_f64 v[2:3], v[164:165], s[28:29]
	v_accvgpr_write_b32 a33, v201
	v_accvgpr_write_b32 a34, v202
	;; [unrolled: 1-line block ×4, first 2 shown]
	v_fma_f64 v[6:7], s[36:37], v[238:239], v[4:5]
	v_add_f64 v[42:43], v[186:187], v[42:43]
	v_accvgpr_write_b32 a36, v204
	v_mul_f64 v[200:201], v[220:221], s[34:35]
	v_accvgpr_write_b32 a4, v8
	s_mov_b32 s49, 0xbfeec746
	s_mov_b32 s48, s44
	v_accvgpr_write_b32 a80, v192
	v_accvgpr_mov_b32 a2, a84
	v_accvgpr_write_b32 a45, v197
	v_accvgpr_write_b32 a46, v198
	v_accvgpr_write_b32 a47, v199
	v_mul_f64 v[196:197], v[172:173], s[54:55]
	v_accvgpr_write_b32 a85, v1
	v_fma_f64 v[202:203], s[16:17], v[246:247], v[2:3]
	v_add_f64 v[6:7], v[6:7], v[42:43]
	v_accvgpr_write_b32 a37, v205
	v_accvgpr_write_b32 a38, v206
	;; [unrolled: 1-line block ×3, first 2 shown]
	v_mul_f64 v[204:205], v[228:229], s[46:47]
	v_accvgpr_write_b32 a5, v9
	v_accvgpr_write_b32 a6, v10
	;; [unrolled: 1-line block ×3, first 2 shown]
	v_fma_f64 v[8:9], v[214:215], s[20:21], -v[200:201]
	v_accvgpr_write_b32 a81, v193
	v_mul_f64 v[192:193], v[178:179], s[48:49]
	v_accvgpr_write_b32 a84, v0
	v_fma_f64 v[0:1], s[0:1], v[254:255], v[196:197]
	v_add_f64 v[6:7], v[202:203], v[6:7]
	v_mul_f64 v[198:199], v[236:237], s[42:43]
	v_fma_f64 v[206:207], v[218:219], s[30:31], -v[204:205]
	v_add_f64 v[8:9], v[116:117], v[8:9]
	s_mov_b32 s61, 0x3fefdd0d
	s_mov_b32 s60, s22
	v_accvgpr_write_b32 a114, v188
	v_fma_f64 v[194:195], s[26:27], v[168:169], v[192:193]
	v_add_f64 v[0:1], v[0:1], v[6:7]
	v_mul_f64 v[202:203], v[244:245], s[52:53]
	v_add_f64 v[8:9], v[206:207], v[8:9]
	v_fma_f64 v[10:11], v[226:227], s[38:39], -v[198:199]
	v_accvgpr_write_b32 a115, v189
	v_mul_f64 v[188:189], v[180:181], s[60:61]
	v_add_f64 v[0:1], v[194:195], v[0:1]
	v_mul_f64 v[194:195], v[252:253], s[28:29]
	v_add_f64 v[8:9], v[10:11], v[8:9]
	v_fma_f64 v[10:11], v[232:233], s[36:37], -v[202:203]
	v_fma_f64 v[190:191], s[6:7], v[212:213], v[188:189]
	v_accvgpr_write_b32 a103, v35
	v_mul_f64 v[186:187], v[166:167], s[54:55]
	v_add_f64 v[8:9], v[10:11], v[8:9]
	v_fma_f64 v[10:11], v[240:241], s[16:17], -v[194:195]
	v_accvgpr_write_b32 a102, v34
	v_add_f64 v[34:35], v[190:191], v[0:1]
	v_mul_f64 v[42:43], v[174:175], s[48:49]
	v_fma_f64 v[190:191], v[248:249], s[0:1], -v[186:187]
	v_add_f64 v[8:9], v[10:11], v[8:9]
	v_fma_f64 v[44:45], v[216:217], s[20:21], -v[44:45]
	v_fma_f64 v[46:47], v[210:211], s[26:27], -v[42:43]
	v_add_f64 v[8:9], v[190:191], v[8:9]
	v_fma_f64 v[40:41], v[222:223], s[30:31], -v[40:41]
	v_add_f64 v[44:45], v[118:119], v[44:45]
	v_add_f64 v[8:9], v[46:47], v[8:9]
	v_fma_f64 v[46:47], v[230:231], s[38:39], -v[184:185]
	v_add_f64 v[40:41], v[40:41], v[44:45]
	v_fma_f64 v[4:5], v[238:239], s[36:37], -v[4:5]
	v_add_f64 v[40:41], v[46:47], v[40:41]
	v_mul_f64 v[0:1], v[176:177], s[60:61]
	v_fma_f64 v[2:3], v[246:247], s[16:17], -v[2:3]
	v_add_f64 v[4:5], v[4:5], v[40:41]
	v_fma_f64 v[6:7], v[170:171], s[6:7], -v[0:1]
	v_accvgpr_write_b32 a107, v33
	v_fma_f64 v[10:11], v[254:255], s[0:1], -v[196:197]
	v_add_f64 v[2:3], v[2:3], v[4:5]
	v_accvgpr_write_b32 a106, v32
	v_add_f64 v[32:33], v[6:7], v[8:9]
	v_fma_f64 v[8:9], v[168:169], s[26:27], -v[192:193]
	v_add_f64 v[2:3], v[10:11], v[2:3]
	v_fma_f64 v[6:7], v[212:213], s[6:7], -v[188:189]
	v_add_f64 v[2:3], v[8:9], v[2:3]
	v_fmac_f64_e32 v[200:201], s[20:21], v[214:215]
	v_add_f64 v[4:5], v[6:7], v[2:3]
	v_fmac_f64_e32 v[204:205], s[30:31], v[218:219]
	;; [unrolled: 2-line block ×5, first 2 shown]
	v_add_f64 v[2:3], v[202:203], v[2:3]
	v_mul_f64 v[192:193], v[224:225], s[42:43]
	v_add_f64 v[2:3], v[194:195], v[2:3]
	v_mul_f64 v[188:189], v[234:235], s[54:55]
	v_fma_f64 v[194:195], s[38:39], v[216:217], v[192:193]
	v_fmac_f64_e32 v[186:187], s[0:1], v[248:249]
	v_mul_f64 v[184:185], v[242:243], s[22:23]
	v_fma_f64 v[190:191], s[0:1], v[222:223], v[188:189]
	v_add_f64 v[194:195], v[118:119], v[194:195]
	v_fmac_f64_e32 v[42:43], s[26:27], v[210:211]
	v_add_f64 v[2:3], v[186:187], v[2:3]
	v_mul_f64 v[44:45], v[250:251], s[56:57]
	v_fma_f64 v[186:187], s[6:7], v[230:231], v[184:185]
	v_add_f64 v[190:191], v[190:191], v[194:195]
	v_fmac_f64_e32 v[0:1], s[6:7], v[170:171]
	v_add_f64 v[2:3], v[42:43], v[2:3]
	v_mul_f64 v[40:41], v[164:165], s[40:41]
	v_fma_f64 v[46:47], s[16:17], v[238:239], v[44:45]
	v_add_f64 v[186:187], v[186:187], v[190:191]
	v_mul_f64 v[194:195], v[220:221], s[42:43]
	v_add_f64 v[2:3], v[0:1], v[2:3]
	v_accvgpr_write_b32 a55, v5
	v_mul_f64 v[8:9], v[172:173], s[34:35]
	v_fma_f64 v[42:43], s[30:31], v[246:247], v[40:41]
	v_add_f64 v[46:47], v[46:47], v[186:187]
	v_mul_f64 v[186:187], v[228:229], s[54:55]
	v_fma_f64 v[196:197], v[214:215], s[38:39], -v[194:195]
	v_accvgpr_write_b32 a54, v4
	v_accvgpr_write_b32 a53, v3
	;; [unrolled: 1-line block ×3, first 2 shown]
	v_mul_f64 v[4:5], v[178:179], s[52:53]
	v_fma_f64 v[10:11], s[20:21], v[254:255], v[8:9]
	v_add_f64 v[42:43], v[42:43], v[46:47]
	v_mul_f64 v[46:47], v[236:237], s[22:23]
	v_fma_f64 v[190:191], v[218:219], s[0:1], -v[186:187]
	v_add_f64 v[196:197], v[116:117], v[196:197]
	v_mul_f64 v[0:1], v[180:181], s[48:49]
	v_fma_f64 v[6:7], s[36:37], v[168:169], v[4:5]
	v_add_f64 v[10:11], v[10:11], v[42:43]
	v_mul_f64 v[42:43], v[244:245], s[56:57]
	v_add_f64 v[190:191], v[190:191], v[196:197]
	v_fma_f64 v[196:197], v[226:227], s[6:7], -v[46:47]
	v_accvgpr_write_b32 a43, v35
	v_fma_f64 v[2:3], s[26:27], v[212:213], v[0:1]
	v_add_f64 v[6:7], v[6:7], v[10:11]
	v_mul_f64 v[10:11], v[252:253], s[40:41]
	v_add_f64 v[190:191], v[196:197], v[190:191]
	v_fma_f64 v[196:197], v[232:233], s[16:17], -v[42:43]
	v_accvgpr_write_b32 a42, v34
	v_accvgpr_write_b32 a41, v33
	;; [unrolled: 1-line block ×3, first 2 shown]
	v_add_f64 v[34:35], v[2:3], v[6:7]
	v_mul_f64 v[6:7], v[166:167], s[34:35]
	v_add_f64 v[190:191], v[196:197], v[190:191]
	v_fma_f64 v[196:197], v[240:241], s[30:31], -v[10:11]
	v_mul_f64 v[2:3], v[174:175], s[52:53]
	v_add_f64 v[190:191], v[196:197], v[190:191]
	v_fma_f64 v[196:197], v[248:249], s[20:21], -v[6:7]
	v_add_f64 v[190:191], v[196:197], v[190:191]
	v_fma_f64 v[196:197], v[210:211], s[36:37], -v[2:3]
	v_add_f64 v[190:191], v[196:197], v[190:191]
	v_mul_f64 v[196:197], v[176:177], s[48:49]
	v_fma_f64 v[198:199], v[170:171], s[26:27], -v[196:197]
	v_add_f64 v[32:33], v[198:199], v[190:191]
	v_fma_f64 v[190:191], v[216:217], s[38:39], -v[192:193]
	v_fma_f64 v[188:189], v[222:223], s[0:1], -v[188:189]
	v_add_f64 v[190:191], v[118:119], v[190:191]
	v_fma_f64 v[184:185], v[230:231], s[6:7], -v[184:185]
	v_add_f64 v[188:189], v[188:189], v[190:191]
	;; [unrolled: 2-line block ×7, first 2 shown]
	v_fmac_f64_e32 v[194:195], s[38:39], v[214:215]
	v_add_f64 v[4:5], v[0:1], v[4:5]
	v_fmac_f64_e32 v[186:187], s[0:1], v[218:219]
	v_add_f64 v[0:1], v[116:117], v[194:195]
	;; [unrolled: 2-line block ×5, first 2 shown]
	v_mul_f64 v[188:189], v[224:225], s[28:29]
	v_fmac_f64_e32 v[6:7], s[20:21], v[248:249]
	v_add_f64 v[0:1], v[10:11], v[0:1]
	v_mul_f64 v[184:185], v[234:235], s[44:45]
	v_fma_f64 v[190:191], s[16:17], v[216:217], v[188:189]
	v_fmac_f64_e32 v[2:3], s[36:37], v[210:211]
	v_add_f64 v[0:1], v[6:7], v[0:1]
	v_mul_f64 v[44:45], v[242:243], s[40:41]
	v_fma_f64 v[186:187], s[26:27], v[222:223], v[184:185]
	v_add_f64 v[190:191], v[118:119], v[190:191]
	v_fmac_f64_e32 v[196:197], s[26:27], v[170:171]
	v_add_f64 v[0:1], v[2:3], v[0:1]
	v_mul_f64 v[40:41], v[250:251], s[42:43]
	v_fma_f64 v[46:47], s[30:31], v[230:231], v[44:45]
	v_add_f64 v[186:187], v[186:187], v[190:191]
	v_add_f64 v[2:3], v[196:197], v[0:1]
	v_accvgpr_write_b32 a67, v5
	s_mov_b32 s59, 0xbfe58eea
	s_mov_b32 s58, s52
	v_mul_f64 v[8:9], v[164:165], s[60:61]
	v_fma_f64 v[42:43], s[38:39], v[238:239], v[40:41]
	v_add_f64 v[46:47], v[46:47], v[186:187]
	v_mul_f64 v[190:191], v[220:221], s[28:29]
	v_accvgpr_write_b32 a66, v4
	v_accvgpr_write_b32 a65, v3
	;; [unrolled: 1-line block ×3, first 2 shown]
	v_mul_f64 v[4:5], v[172:173], s[58:59]
	v_fma_f64 v[10:11], s[6:7], v[246:247], v[8:9]
	v_add_f64 v[42:43], v[42:43], v[46:47]
	v_mul_f64 v[46:47], v[228:229], s[44:45]
	v_fma_f64 v[192:193], v[214:215], s[16:17], -v[190:191]
	v_mul_f64 v[0:1], v[178:179], s[34:35]
	v_fma_f64 v[6:7], s[36:37], v[254:255], v[4:5]
	v_add_f64 v[10:11], v[10:11], v[42:43]
	v_mul_f64 v[42:43], v[236:237], s[40:41]
	v_fma_f64 v[186:187], v[218:219], s[26:27], -v[46:47]
	v_add_f64 v[192:193], v[116:117], v[192:193]
	v_fma_f64 v[2:3], s[20:21], v[168:169], v[0:1]
	v_add_f64 v[6:7], v[6:7], v[10:11]
	v_mul_f64 v[10:11], v[244:245], s[42:43]
	v_add_f64 v[186:187], v[186:187], v[192:193]
	v_fma_f64 v[192:193], v[226:227], s[30:31], -v[42:43]
	v_add_f64 v[2:3], v[2:3], v[6:7]
	v_mul_f64 v[6:7], v[252:253], s[60:61]
	v_add_f64 v[186:187], v[192:193], v[186:187]
	v_fma_f64 v[192:193], v[232:233], s[38:39], -v[10:11]
	v_add_f64 v[186:187], v[192:193], v[186:187]
	v_fma_f64 v[192:193], v[240:241], s[6:7], -v[6:7]
	v_add_f64 v[186:187], v[192:193], v[186:187]
	v_mul_f64 v[192:193], v[166:167], s[58:59]
	v_fma_f64 v[194:195], v[248:249], s[36:37], -v[192:193]
	v_add_f64 v[186:187], v[194:195], v[186:187]
	v_mul_f64 v[194:195], v[174:175], s[34:35]
	;; [unrolled: 3-line block ×3, first 2 shown]
	v_accvgpr_write_b32 a59, v35
	v_fma_f64 v[198:199], s[0:1], v[212:213], v[196:197]
	v_accvgpr_write_b32 a58, v34
	v_accvgpr_write_b32 a57, v33
	;; [unrolled: 1-line block ×3, first 2 shown]
	v_add_f64 v[34:35], v[198:199], v[2:3]
	v_mul_f64 v[2:3], v[176:177], s[54:55]
	v_fma_f64 v[198:199], v[170:171], s[0:1], -v[2:3]
	v_add_f64 v[32:33], v[198:199], v[186:187]
	v_fma_f64 v[186:187], v[216:217], s[16:17], -v[188:189]
	v_fma_f64 v[184:185], v[222:223], s[26:27], -v[184:185]
	v_add_f64 v[186:187], v[118:119], v[186:187]
	v_add_f64 v[184:185], v[184:185], v[186:187]
	v_fma_f64 v[44:45], v[230:231], s[30:31], -v[44:45]
	v_add_f64 v[44:45], v[44:45], v[184:185]
	v_fma_f64 v[40:41], v[238:239], s[38:39], -v[40:41]
	v_add_f64 v[40:41], v[40:41], v[44:45]
	v_fma_f64 v[8:9], v[246:247], s[6:7], -v[8:9]
	v_fma_f64 v[4:5], v[254:255], s[36:37], -v[4:5]
	v_add_f64 v[8:9], v[8:9], v[40:41]
	v_fma_f64 v[0:1], v[168:169], s[20:21], -v[0:1]
	v_add_f64 v[4:5], v[4:5], v[8:9]
	;; [unrolled: 2-line block ×3, first 2 shown]
	v_fmac_f64_e32 v[190:191], s[16:17], v[214:215]
	v_add_f64 v[4:5], v[44:45], v[0:1]
	v_fmac_f64_e32 v[46:47], s[26:27], v[218:219]
	v_add_f64 v[0:1], v[116:117], v[190:191]
	;; [unrolled: 2-line block ×5, first 2 shown]
	s_mov_b32 s63, 0x3fe0d888
	s_mov_b32 s62, s42
	v_mul_f64 v[46:47], v[224:225], s[48:49]
	v_fmac_f64_e32 v[192:193], s[36:37], v[248:249]
	v_add_f64 v[0:1], v[6:7], v[0:1]
	v_mul_f64 v[42:43], v[234:235], s[62:63]
	v_fma_f64 v[184:185], s[26:27], v[216:217], v[46:47]
	v_fmac_f64_e32 v[194:195], s[20:21], v[210:211]
	v_add_f64 v[0:1], v[192:193], v[0:1]
	v_mul_f64 v[40:41], v[242:243], s[52:53]
	v_fma_f64 v[44:45], s[38:39], v[222:223], v[42:43]
	v_add_f64 v[184:185], v[118:119], v[184:185]
	v_fmac_f64_e32 v[2:3], s[0:1], v[170:171]
	v_add_f64 v[0:1], v[194:195], v[0:1]
	v_mul_f64 v[10:11], v[250:251], s[18:19]
	v_add_f64 v[44:45], v[44:45], v[184:185]
	v_fma_f64 v[184:185], s[36:37], v[230:231], v[40:41]
	v_add_f64 v[2:3], v[2:3], v[0:1]
	v_accvgpr_write_b32 a111, v5
	v_mul_f64 v[8:9], v[164:165], s[34:35]
	v_add_f64 v[44:45], v[184:185], v[44:45]
	v_fma_f64 v[184:185], s[0:1], v[238:239], v[10:11]
	v_accvgpr_write_b32 a110, v4
	v_accvgpr_write_b32 a109, v3
	;; [unrolled: 1-line block ×3, first 2 shown]
	v_mul_f64 v[4:5], v[172:173], s[60:61]
	v_add_f64 v[44:45], v[184:185], v[44:45]
	v_fma_f64 v[184:185], s[20:21], v[246:247], v[8:9]
	v_fma_f64 v[46:47], v[216:217], s[26:27], -v[46:47]
	v_mul_f64 v[0:1], v[178:179], s[40:41]
	v_fma_f64 v[6:7], s[6:7], v[254:255], v[4:5]
	v_add_f64 v[44:45], v[184:185], v[44:45]
	v_fma_f64 v[42:43], v[222:223], s[38:39], -v[42:43]
	v_add_f64 v[46:47], v[118:119], v[46:47]
	v_fma_f64 v[2:3], s[30:31], v[168:169], v[0:1]
	v_add_f64 v[6:7], v[6:7], v[44:45]
	v_mul_f64 v[44:45], v[220:221], s[48:49]
	v_add_f64 v[42:43], v[42:43], v[46:47]
	v_fma_f64 v[40:41], v[230:231], s[36:37], -v[40:41]
	v_add_f64 v[2:3], v[2:3], v[6:7]
	v_mul_f64 v[6:7], v[228:229], s[62:63]
	v_fma_f64 v[184:185], v[214:215], s[26:27], -v[44:45]
	v_add_f64 v[40:41], v[40:41], v[42:43]
	v_fma_f64 v[10:11], v[238:239], s[0:1], -v[10:11]
	v_add_f64 v[184:185], v[116:117], v[184:185]
	;; [unrolled: 2-line block ×4, first 2 shown]
	v_mul_f64 v[186:187], v[236:237], s[52:53]
	v_add_f64 v[8:9], v[8:9], v[10:11]
	v_fma_f64 v[4:5], v[254:255], s[6:7], -v[4:5]
	v_fma_f64 v[188:189], v[226:227], s[36:37], -v[186:187]
	v_mul_f64 v[192:193], v[244:245], s[18:19]
	v_add_f64 v[4:5], v[4:5], v[8:9]
	v_fma_f64 v[0:1], v[168:169], s[30:31], -v[0:1]
	v_fmac_f64_e32 v[44:45], s[26:27], v[214:215]
	v_add_f64 v[184:185], v[188:189], v[184:185]
	v_fma_f64 v[188:189], v[232:233], s[0:1], -v[192:193]
	v_mul_f64 v[194:195], v[252:253], s[34:35]
	v_add_f64 v[0:1], v[0:1], v[4:5]
	v_fmac_f64_e32 v[6:7], s[38:39], v[218:219]
	v_add_f64 v[4:5], v[116:117], v[44:45]
	v_add_f64 v[184:185], v[188:189], v[184:185]
	v_fma_f64 v[188:189], v[240:241], s[20:21], -v[194:195]
	v_mul_f64 v[196:197], v[166:167], s[60:61]
	v_add_f64 v[4:5], v[6:7], v[4:5]
	v_fmac_f64_e32 v[186:187], s[36:37], v[226:227]
	v_add_f64 v[184:185], v[188:189], v[184:185]
	v_fma_f64 v[188:189], v[248:249], s[6:7], -v[196:197]
	v_mul_f64 v[198:199], v[174:175], s[40:41]
	v_add_f64 v[4:5], v[186:187], v[4:5]
	v_fmac_f64_e32 v[192:193], s[0:1], v[232:233]
	;; [unrolled: 5-line block ×3, first 2 shown]
	v_add_f64 v[184:185], v[188:189], v[184:185]
	v_fma_f64 v[188:189], s[16:17], v[212:213], v[200:201]
	v_add_f64 v[4:5], v[194:195], v[4:5]
	v_fmac_f64_e32 v[196:197], s[6:7], v[248:249]
	v_add_f64 v[190:191], v[188:189], v[2:3]
	v_mul_f64 v[2:3], v[176:177], s[28:29]
	v_add_f64 v[4:5], v[196:197], v[4:5]
	v_fmac_f64_e32 v[198:199], s[30:31], v[210:211]
	v_fma_f64 v[188:189], v[170:171], s[16:17], -v[2:3]
	v_add_f64 v[4:5], v[198:199], v[4:5]
	v_fmac_f64_e32 v[2:3], s[16:17], v[170:171]
	v_accvgpr_write_b32 a89, v35
	v_add_f64 v[192:193], v[2:3], v[4:5]
	v_accvgpr_read_b32 v4, a112
	v_accvgpr_write_b32 a88, v34
	v_accvgpr_write_b32 a87, v33
	;; [unrolled: 1-line block ×3, first 2 shown]
	v_mul_f64 v[2:3], v[180:181], s[52:53]
	v_accvgpr_read_b32 v5, a113
	v_accvgpr_read_b32 v32, a104
	v_add_f64 v[2:3], v[4:5], -v[2:3]
	v_mul_f64 v[4:5], v[178:179], s[56:57]
	v_accvgpr_read_b32 v33, a105
	v_fma_f64 v[44:45], v[212:213], s[16:17], -v[200:201]
	v_add_f64 v[4:5], v[32:33], -v[4:5]
	v_accvgpr_read_b32 v32, a100
	v_add_f64 v[194:195], v[44:45], v[0:1]
	v_mul_f64 v[44:45], v[172:173], s[42:43]
	v_accvgpr_read_b32 v33, a101
	v_add_f64 v[44:45], v[32:33], -v[44:45]
	v_accvgpr_read_b32 v32, a78
	v_mul_f64 v[46:47], v[164:165], s[18:19]
	v_accvgpr_read_b32 v33, a79
	v_add_f64 v[46:47], v[32:33], -v[46:47]
	v_accvgpr_read_b32 v32, a74
	v_add_f64 v[188:189], v[188:189], v[184:185]
	v_mul_f64 v[184:185], v[250:251], s[46:47]
	v_accvgpr_read_b32 v33, a75
	v_add_f64 v[184:185], v[32:33], -v[184:185]
	v_accvgpr_read_b32 v33, a19
	v_mul_f64 v[186:187], v[242:243], s[44:45]
	v_accvgpr_read_b32 v32, a18
	v_add_f64 v[186:187], v[32:33], -v[186:187]
	v_accvgpr_read_b32 v33, a11
	v_mul_f64 v[196:197], v[234:235], s[34:35]
	v_accvgpr_read_b32 v32, a10
	v_add_f64 v[196:197], v[32:33], -v[196:197]
	v_accvgpr_read_b32 v33, a9
	v_mul_f64 v[40:41], v[224:225], s[22:23]
	v_accvgpr_read_b32 v32, a8
	v_add_f64 v[40:41], v[32:33], -v[40:41]
	v_add_f64 v[40:41], v[118:119], v[40:41]
	v_add_f64 v[40:41], v[196:197], v[40:41]
	;; [unrolled: 1-line block ×6, first 2 shown]
	v_accvgpr_read_b32 v32, a114
	v_add_f64 v[4:5], v[4:5], v[40:41]
	v_mul_f64 v[40:41], v[170:171], s[36:37]
	v_accvgpr_read_b32 v33, a115
	v_add_f64 v[40:41], v[40:41], v[32:33]
	v_accvgpr_read_b32 v32, a82
	v_mul_f64 v[196:197], v[210:211], s[16:17]
	v_accvgpr_read_b32 v33, a83
	v_add_f64 v[196:197], v[196:197], v[32:33]
	v_accvgpr_read_b32 v32, a76
	;; [unrolled: 4-line block ×3, first 2 shown]
	v_mul_f64 v[206:207], v[240:241], s[0:1]
	v_accvgpr_read_b32 v33, a71
	v_accvgpr_write_b32 a8, v12
	v_add_f64 v[206:207], v[206:207], v[32:33]
	v_accvgpr_write_b32 a9, v13
	v_accvgpr_write_b32 a10, v14
	;; [unrolled: 1-line block ×3, first 2 shown]
	v_accvgpr_read_b32 v14, a14
	v_accvgpr_read_b32 v33, a13
	;; [unrolled: 1-line block ×4, first 2 shown]
	v_accvgpr_write_b32 a12, v16
	v_accvgpr_write_b32 a13, v17
	;; [unrolled: 1-line block ×4, first 2 shown]
	v_accvgpr_read_b32 v19, a17
	v_accvgpr_read_b32 v18, a16
	v_accvgpr_write_b32 a16, v20
	v_accvgpr_write_b32 a17, v21
	v_accvgpr_write_b32 a18, v22
	v_accvgpr_write_b32 a19, v23
	v_accvgpr_read_b32 v23, a21
	v_mul_f64 v[10:11], v[214:215], s[6:7]
	v_accvgpr_read_b32 v22, a20
	v_mul_f64 v[198:199], v[218:219], s[20:21]
	v_add_f64 v[10:11], v[10:11], v[22:23]
	v_mul_f64 v[186:187], v[226:227], s[26:27]
	v_add_f64 v[18:19], v[198:199], v[18:19]
	v_add_f64 v[10:11], v[116:117], v[10:11]
	v_mul_f64 v[44:45], v[232:233], s[30:31]
	v_add_f64 v[186:187], v[186:187], v[32:33]
	v_add_f64 v[10:11], v[18:19], v[10:11]
	;; [unrolled: 1-line block ×5, first 2 shown]
	v_accvgpr_read_b32 v32, a102
	v_mul_f64 v[0:1], v[234:235], s[28:29]
	v_add_f64 v[198:199], v[2:3], v[4:5]
	v_add_f64 v[2:3], v[206:207], v[10:11]
	v_accvgpr_read_b32 v33, a103
	v_add_f64 v[2:3], v[204:205], v[2:3]
	v_accvgpr_read_b32 v10, a62
	v_add_f64 v[0:1], v[32:33], -v[0:1]
	v_accvgpr_read_b32 v32, a98
	v_mul_f64 v[8:9], v[224:225], s[18:19]
	v_mul_f64 v[20:21], v[172:173], s[40:41]
	v_add_f64 v[2:3], v[196:197], v[2:3]
	v_accvgpr_read_b32 v4, a68
	v_accvgpr_read_b32 v11, a63
	;; [unrolled: 1-line block ×3, first 2 shown]
	v_mul_f64 v[18:19], v[178:179], s[22:23]
	v_add_f64 v[196:197], v[40:41], v[2:3]
	v_accvgpr_read_b32 v2, a72
	v_accvgpr_read_b32 v5, a69
	v_add_f64 v[10:11], v[10:11], -v[20:21]
	v_accvgpr_read_b32 v20, a22
	v_add_f64 v[8:9], v[32:33], -v[8:9]
	v_mul_f64 v[202:203], v[242:243], s[50:51]
	v_mul_f64 v[14:15], v[180:181], s[42:43]
	v_accvgpr_read_b32 v3, a73
	v_add_f64 v[4:5], v[4:5], -v[18:19]
	v_accvgpr_read_b32 v18, a26
	v_accvgpr_read_b32 v21, a23
	v_add_f64 v[8:9], v[118:119], v[8:9]
	v_mul_f64 v[46:47], v[250:251], s[44:45]
	v_add_f64 v[2:3], v[2:3], -v[14:15]
	v_accvgpr_read_b32 v14, a60
	v_accvgpr_read_b32 v19, a27
	v_add_f64 v[20:21], v[20:21], -v[202:203]
	v_add_f64 v[0:1], v[0:1], v[8:9]
	v_mul_f64 v[44:45], v[164:165], s[52:53]
	v_accvgpr_read_b32 v15, a61
	v_add_f64 v[18:19], v[18:19], -v[46:47]
	v_add_f64 v[0:1], v[20:21], v[0:1]
	v_add_f64 v[14:15], v[14:15], -v[44:45]
	v_add_f64 v[0:1], v[18:19], v[0:1]
	v_add_f64 v[0:1], v[14:15], v[0:1]
	v_add_f64 v[0:1], v[10:11], v[0:1]
	v_add_f64 v[0:1], v[4:5], v[0:1]
	v_accvgpr_read_b32 v4, a92
	v_mul_f64 v[16:17], v[248:249], s[30:31]
	v_accvgpr_read_b32 v5, a93
	v_add_f64 v[4:5], v[16:17], v[4:5]
	v_accvgpr_read_b32 v8, a90
	v_accvgpr_read_b32 v16, a84
	v_mul_f64 v[6:7], v[214:215], s[0:1]
	v_mul_f64 v[12:13], v[240:241], s[36:37]
	v_accvgpr_read_b32 v9, a91
	v_accvgpr_read_b32 v14, a106
	;; [unrolled: 1-line block ×3, first 2 shown]
	v_mul_f64 v[42:43], v[218:219], s[16:17]
	v_add_f64 v[8:9], v[12:13], v[8:9]
	v_accvgpr_read_b32 v12, a80
	v_accvgpr_read_b32 v15, a107
	v_add_f64 v[6:7], v[6:7], v[16:17]
	v_mul_f64 v[200:201], v[226:227], s[20:21]
	v_accvgpr_read_b32 v10, a24
	v_accvgpr_read_b32 v13, a81
	v_add_f64 v[14:15], v[42:43], v[14:15]
	v_add_f64 v[6:7], v[116:117], v[6:7]
	v_mul_f64 v[44:45], v[224:225], s[58:59]
	v_mul_f64 v[184:185], v[232:233], s[26:27]
	v_add_f64 v[206:207], v[2:3], v[0:1]
	v_accvgpr_read_b32 v2, a94
	v_accvgpr_read_b32 v11, a25
	v_add_f64 v[12:13], v[200:201], v[12:13]
	v_add_f64 v[6:7], v[14:15], v[6:7]
	v_mul_f64 v[40:41], v[234:235], s[22:23]
	v_fma_f64 v[46:47], s[36:37], v[216:217], v[44:45]
	v_mul_f64 v[22:23], v[210:211], s[6:7]
	v_accvgpr_read_b32 v3, a95
	v_add_f64 v[10:11], v[184:185], v[10:11]
	v_add_f64 v[6:7], v[12:13], v[6:7]
	v_mul_f64 v[20:21], v[242:243], s[28:29]
	v_fma_f64 v[42:43], s[6:7], v[222:223], v[40:41]
	v_add_f64 v[46:47], v[118:119], v[46:47]
	v_accvgpr_write_b32 a24, v28
	v_mul_f64 v[32:33], v[220:221], s[58:59]
	v_add_f64 v[2:3], v[22:23], v[2:3]
	v_add_f64 v[6:7], v[10:11], v[6:7]
	v_mul_f64 v[16:17], v[250:251], s[34:35]
	v_fma_f64 v[22:23], s[16:17], v[230:231], v[20:21]
	v_add_f64 v[42:43], v[42:43], v[46:47]
	v_accvgpr_write_b32 a20, v24
	v_accvgpr_write_b32 a25, v29
	;; [unrolled: 1-line block ×4, first 2 shown]
	v_mul_f64 v[28:29], v[228:229], s[22:23]
	v_fma_f64 v[34:35], v[214:215], s[36:37], -v[32:33]
	v_accvgpr_read_b32 v0, a96
	v_add_f64 v[6:7], v[8:9], v[6:7]
	v_mul_f64 v[12:13], v[164:165], s[62:63]
	v_fma_f64 v[18:19], s[20:21], v[238:239], v[16:17]
	v_add_f64 v[22:23], v[22:23], v[42:43]
	v_accvgpr_write_b32 a21, v25
	v_accvgpr_write_b32 a22, v26
	;; [unrolled: 1-line block ×3, first 2 shown]
	v_mul_f64 v[24:25], v[236:237], s[28:29]
	v_fma_f64 v[30:31], v[218:219], s[6:7], -v[28:29]
	v_add_f64 v[34:35], v[116:117], v[34:35]
	v_mul_f64 v[186:187], v[170:171], s[38:39]
	v_accvgpr_read_b32 v1, a97
	v_add_f64 v[4:5], v[4:5], v[6:7]
	v_mul_f64 v[8:9], v[172:173], s[44:45]
	v_fma_f64 v[14:15], s[38:39], v[246:247], v[12:13]
	v_add_f64 v[18:19], v[18:19], v[22:23]
	v_mul_f64 v[184:185], v[244:245], s[34:35]
	v_fma_f64 v[26:27], v[226:227], s[16:17], -v[24:25]
	v_add_f64 v[30:31], v[30:31], v[34:35]
	v_add_f64 v[0:1], v[186:187], v[0:1]
	;; [unrolled: 1-line block ×3, first 2 shown]
	v_mul_f64 v[4:5], v[178:179], s[54:55]
	v_fma_f64 v[10:11], s[26:27], v[254:255], v[8:9]
	v_add_f64 v[14:15], v[14:15], v[18:19]
	v_mul_f64 v[46:47], v[252:253], s[62:63]
	v_fma_f64 v[186:187], v[232:233], s[20:21], -v[184:185]
	v_add_f64 v[26:27], v[26:27], v[30:31]
	v_add_f64 v[204:205], v[0:1], v[2:3]
	v_mul_f64 v[0:1], v[180:181], s[46:47]
	v_fma_f64 v[6:7], s[0:1], v[168:169], v[4:5]
	v_add_f64 v[10:11], v[10:11], v[14:15]
	v_mul_f64 v[18:19], v[166:167], s[44:45]
	v_fma_f64 v[42:43], v[240:241], s[38:39], -v[46:47]
	v_add_f64 v[26:27], v[186:187], v[26:27]
	v_fma_f64 v[2:3], s[30:31], v[212:213], v[0:1]
	v_add_f64 v[6:7], v[6:7], v[10:11]
	v_mul_f64 v[10:11], v[174:175], s[54:55]
	v_fma_f64 v[22:23], v[248:249], s[26:27], -v[18:19]
	v_add_f64 v[26:27], v[42:43], v[26:27]
	v_add_f64 v[202:203], v[2:3], v[6:7]
	v_mul_f64 v[2:3], v[176:177], s[46:47]
	v_fma_f64 v[14:15], v[210:211], s[0:1], -v[10:11]
	v_add_f64 v[22:23], v[22:23], v[26:27]
	v_fma_f64 v[6:7], v[170:171], s[30:31], -v[2:3]
	v_add_f64 v[14:15], v[14:15], v[22:23]
	v_add_f64 v[200:201], v[6:7], v[14:15]
	v_fma_f64 v[14:15], v[230:231], s[16:17], -v[20:21]
	v_fma_f64 v[20:21], v[216:217], s[36:37], -v[44:45]
	;; [unrolled: 1-line block ×6, first 2 shown]
	v_add_f64 v[20:21], v[118:119], v[20:21]
	v_add_f64 v[16:17], v[16:17], v[20:21]
	;; [unrolled: 1-line block ×5, first 2 shown]
	v_fma_f64 v[4:5], v[168:169], s[0:1], -v[4:5]
	v_add_f64 v[6:7], v[6:7], v[8:9]
	v_fma_f64 v[0:1], v[212:213], s[30:31], -v[0:1]
	v_add_f64 v[4:5], v[4:5], v[6:7]
	v_fmac_f64_e32 v[32:33], s[36:37], v[214:215]
	v_add_f64 v[42:43], v[0:1], v[4:5]
	v_fmac_f64_e32 v[28:29], s[6:7], v[218:219]
	v_add_f64 v[0:1], v[116:117], v[32:33]
	v_fmac_f64_e32 v[24:25], s[16:17], v[226:227]
	v_add_f64 v[0:1], v[28:29], v[0:1]
	v_mul_f64 v[28:29], v[224:225], s[40:41]
	v_fmac_f64_e32 v[184:185], s[20:21], v[232:233]
	v_add_f64 v[0:1], v[24:25], v[0:1]
	v_mul_f64 v[24:25], v[234:235], s[58:59]
	v_fma_f64 v[30:31], s[30:31], v[216:217], v[28:29]
	v_fmac_f64_e32 v[46:47], s[38:39], v[240:241]
	v_add_f64 v[0:1], v[184:185], v[0:1]
	v_mul_f64 v[20:21], v[242:243], s[18:19]
	v_fma_f64 v[26:27], s[36:37], v[222:223], v[24:25]
	v_add_f64 v[30:31], v[118:119], v[30:31]
	v_fmac_f64_e32 v[18:19], s[26:27], v[248:249]
	v_add_f64 v[0:1], v[46:47], v[0:1]
	v_mul_f64 v[16:17], v[250:251], s[22:23]
	v_fma_f64 v[22:23], s[0:1], v[230:231], v[20:21]
	v_add_f64 v[26:27], v[26:27], v[30:31]
	v_add_f64 v[0:1], v[18:19], v[0:1]
	v_mul_f64 v[12:13], v[164:165], s[48:49]
	v_fma_f64 v[18:19], s[6:7], v[238:239], v[16:17]
	v_add_f64 v[22:23], v[22:23], v[26:27]
	v_fmac_f64_e32 v[10:11], s[0:1], v[210:211]
	v_mul_f64 v[8:9], v[172:173], s[28:29]
	v_fma_f64 v[14:15], s[26:27], v[246:247], v[12:13]
	v_add_f64 v[18:19], v[18:19], v[22:23]
	v_fmac_f64_e32 v[2:3], s[30:31], v[170:171]
	v_add_f64 v[0:1], v[10:11], v[0:1]
	v_mul_f64 v[4:5], v[178:179], s[42:43]
	v_fma_f64 v[10:11], s[16:17], v[254:255], v[8:9]
	v_add_f64 v[14:15], v[14:15], v[18:19]
	v_add_f64 v[40:41], v[2:3], v[0:1]
	v_mul_f64 v[0:1], v[180:181], s[34:35]
	v_fma_f64 v[6:7], s[38:39], v[168:169], v[4:5]
	v_add_f64 v[10:11], v[10:11], v[14:15]
	v_fma_f64 v[2:3], s[20:21], v[212:213], v[0:1]
	v_add_f64 v[6:7], v[6:7], v[10:11]
	v_mul_f64 v[10:11], v[174:175], s[42:43]
	v_mul_f64 v[174:175], v[220:221], s[40:41]
	v_add_f64 v[46:47], v[2:3], v[6:7]
	v_mul_f64 v[2:3], v[176:177], s[34:35]
	v_mul_f64 v[172:173], v[228:229], s[58:59]
	v_fma_f64 v[176:177], v[214:215], s[30:31], -v[174:175]
	v_mul_f64 v[18:19], v[166:167], s[28:29]
	v_mul_f64 v[164:165], v[236:237], s[18:19]
	v_fma_f64 v[166:167], v[218:219], s[36:37], -v[172:173]
	v_add_f64 v[176:177], v[116:117], v[176:177]
	v_mul_f64 v[32:33], v[244:245], s[22:23]
	v_fma_f64 v[44:45], v[226:227], s[0:1], -v[164:165]
	v_add_f64 v[166:167], v[166:167], v[176:177]
	;; [unrolled: 3-line block ×3, first 2 shown]
	v_fma_f64 v[30:31], v[240:241], s[26:27], -v[26:27]
	v_add_f64 v[34:35], v[34:35], v[44:45]
	v_fma_f64 v[22:23], v[248:249], s[16:17], -v[18:19]
	v_add_f64 v[30:31], v[30:31], v[34:35]
	;; [unrolled: 2-line block ×4, first 2 shown]
	v_add_f64 v[44:45], v[6:7], v[14:15]
	v_fma_f64 v[14:15], v[230:231], s[0:1], -v[20:21]
	v_fma_f64 v[20:21], v[216:217], s[30:31], -v[28:29]
	;; [unrolled: 1-line block ×6, first 2 shown]
	v_add_f64 v[20:21], v[118:119], v[20:21]
	v_add_f64 v[16:17], v[16:17], v[20:21]
	v_add_f64 v[14:15], v[14:15], v[16:17]
	v_add_f64 v[12:13], v[12:13], v[14:15]
	v_add_f64 v[8:9], v[8:9], v[12:13]
	v_fma_f64 v[4:5], v[168:169], s[38:39], -v[4:5]
	v_add_f64 v[6:7], v[6:7], v[8:9]
	v_fma_f64 v[0:1], v[212:213], s[20:21], -v[0:1]
	v_add_f64 v[4:5], v[4:5], v[6:7]
	v_fmac_f64_e32 v[174:175], s[30:31], v[214:215]
	v_add_f64 v[166:167], v[0:1], v[4:5]
	v_fmac_f64_e32 v[172:173], s[36:37], v[218:219]
	v_add_f64 v[0:1], v[116:117], v[174:175]
	v_fmac_f64_e32 v[164:165], s[0:1], v[226:227]
	v_add_f64 v[0:1], v[172:173], v[0:1]
	v_fmac_f64_e32 v[32:33], s[6:7], v[232:233]
	v_add_f64 v[0:1], v[164:165], v[0:1]
	v_fmac_f64_e32 v[26:27], s[26:27], v[240:241]
	v_add_f64 v[0:1], v[32:33], v[0:1]
	v_fmac_f64_e32 v[18:19], s[16:17], v[248:249]
	v_add_f64 v[0:1], v[26:27], v[0:1]
	v_fmac_f64_e32 v[10:11], s[38:39], v[210:211]
	v_add_f64 v[0:1], v[18:19], v[0:1]
	v_fmac_f64_e32 v[2:3], s[20:21], v[170:171]
	v_add_f64 v[0:1], v[10:11], v[0:1]
	v_add_f64 v[164:165], v[2:3], v[0:1]
	;; [unrolled: 1-line block ×15, first 2 shown]
	v_accvgpr_read_b32 v32, a48
	v_add_f64 v[0:1], v[0:1], v[98:99]
	v_accvgpr_read_b32 v34, a50
	v_accvgpr_read_b32 v35, a51
	v_accvgpr_read_b32 v4, a44
	v_add_f64 v[0:1], v[0:1], v[34:35]
	v_accvgpr_read_b32 v6, a46
	v_accvgpr_read_b32 v7, a47
	v_add_f64 v[2:3], v[0:1], v[6:7]
	v_add_f64 v[0:1], v[116:117], v[120:121]
	;; [unrolled: 1-line block ×14, first 2 shown]
	v_accvgpr_read_b32 v33, a49
	v_add_f64 v[0:1], v[0:1], v[96:97]
	v_accvgpr_read_b32 v5, a45
	v_add_f64 v[0:1], v[0:1], v[32:33]
	v_add_f64 v[0:1], v[0:1], v[4:5]
	v_accvgpr_read_b32 v4, a0
	v_mul_lo_u16_e32 v4, 17, v4
	v_lshlrev_b32_e32 v4, 4, v4
	v_accvgpr_read_b32 v187, a31
	v_accvgpr_read_b32 v31, a27
	;; [unrolled: 1-line block ×7, first 2 shown]
	ds_write_b128 v4, v[0:3]
	ds_write_b128 v4, v[164:167] offset:16
	ds_write_b128 v4, v[40:43] offset:32
	;; [unrolled: 1-line block ×3, first 2 shown]
	v_accvgpr_read_b32 v207, a39
	ds_write_b128 v4, v[196:199] offset:64
	ds_write_b128 v4, v[192:195] offset:80
	;; [unrolled: 1-line block ×12, first 2 shown]
	v_accvgpr_read_b32 v203, a35
	v_accvgpr_read_b32 v186, a30
	;; [unrolled: 1-line block ×25, first 2 shown]
	v_accvgpr_mov_b32 a84, a2
	v_accvgpr_read_b32 v202, a34
	v_accvgpr_read_b32 v201, a33
	;; [unrolled: 1-line block ×3, first 2 shown]
	ds_write_b128 v4, v[44:47] offset:256
.LBB0_17:
	s_or_b64 exec, exec, s[24:25]
	s_waitcnt lgkmcnt(0)
	; wave barrier
	s_waitcnt lgkmcnt(0)
	ds_read_b128 v[0:3], v208
	ds_read_b128 v[4:7], v208 offset:816
	ds_read_b128 v[40:43], v208 offset:1632
	;; [unrolled: 1-line block ×12, first 2 shown]
	s_waitcnt lgkmcnt(11)
	v_mul_f64 v[32:33], v[22:23], v[6:7]
	v_fmac_f64_e32 v[32:33], v[20:21], v[4:5]
	v_mul_f64 v[4:5], v[22:23], v[4:5]
	v_fma_f64 v[34:35], v[20:21], v[6:7], -v[4:5]
	s_waitcnt lgkmcnt(10)
	v_mul_f64 v[4:5], v[18:19], v[40:41]
	v_fma_f64 v[138:139], v[16:17], v[42:43], -v[4:5]
	s_waitcnt lgkmcnt(9)
	;; [unrolled: 3-line block ×3, first 2 shown]
	v_mul_f64 v[4:5], v[10:11], v[100:101]
	v_mul_f64 v[136:137], v[18:19], v[42:43]
	v_fma_f64 v[42:43], v[8:9], v[102:103], -v[4:5]
	s_waitcnt lgkmcnt(7)
	v_mul_f64 v[4:5], v[38:39], v[104:105]
	v_fma_f64 v[18:19], v[36:37], v[106:107], -v[4:5]
	s_waitcnt lgkmcnt(6)
	v_mul_f64 v[4:5], v[186:187], v[108:109]
	v_fmac_f64_e32 v[136:137], v[16:17], v[40:41]
	v_mul_f64 v[40:41], v[10:11], v[102:103]
	v_fma_f64 v[10:11], v[184:185], v[110:111], -v[4:5]
	s_waitcnt lgkmcnt(5)
	v_mul_f64 v[4:5], v[30:31], v[112:113]
	v_mul_f64 v[44:45], v[14:15], v[98:99]
	v_fma_f64 v[14:15], v[28:29], v[114:115], -v[4:5]
	s_waitcnt lgkmcnt(4)
	v_mul_f64 v[4:5], v[26:27], v[116:117]
	v_fma_f64 v[22:23], v[24:25], v[118:119], -v[4:5]
	s_waitcnt lgkmcnt(3)
	v_mul_f64 v[4:5], v[62:63], v[120:121]
	v_mul_f64 v[16:17], v[38:39], v[106:107]
	;; [unrolled: 1-line block ×3, first 2 shown]
	v_fma_f64 v[26:27], v[60:61], v[122:123], -v[4:5]
	s_waitcnt lgkmcnt(2)
	v_mul_f64 v[4:5], v[58:59], v[124:125]
	v_fmac_f64_e32 v[44:45], v[12:13], v[96:97]
	v_fmac_f64_e32 v[16:17], v[36:37], v[104:105]
	v_mul_f64 v[12:13], v[30:31], v[114:115]
	v_fma_f64 v[30:31], v[56:57], v[126:127], -v[4:5]
	s_waitcnt lgkmcnt(1)
	v_mul_f64 v[36:37], v[54:55], v[130:131]
	v_mul_f64 v[4:5], v[54:55], v[128:129]
	v_fmac_f64_e32 v[36:37], v[52:53], v[128:129]
	v_fma_f64 v[38:39], v[52:53], v[130:131], -v[4:5]
	s_waitcnt lgkmcnt(0)
	v_mul_f64 v[52:53], v[50:51], v[134:135]
	v_mul_f64 v[4:5], v[50:51], v[132:133]
	v_add_f64 v[6:7], v[2:3], v[34:35]
	v_fmac_f64_e32 v[52:53], v[48:49], v[132:133]
	v_fma_f64 v[48:49], v[48:49], v[134:135], -v[4:5]
	v_add_f64 v[4:5], v[0:1], v[32:33]
	v_add_f64 v[6:7], v[6:7], v[138:139]
	;; [unrolled: 1-line block ×4, first 2 shown]
	v_fmac_f64_e32 v[40:41], v[8:9], v[100:101]
	v_add_f64 v[4:5], v[4:5], v[44:45]
	v_add_f64 v[6:7], v[6:7], v[42:43]
	v_mul_f64 v[8:9], v[186:187], v[110:111]
	v_add_f64 v[4:5], v[4:5], v[40:41]
	v_add_f64 v[6:7], v[6:7], v[18:19]
	v_fmac_f64_e32 v[8:9], v[184:185], v[108:109]
	v_add_f64 v[4:5], v[4:5], v[16:17]
	v_add_f64 v[6:7], v[6:7], v[10:11]
	v_fmac_f64_e32 v[12:13], v[28:29], v[112:113]
	;; [unrolled: 3-line block ×3, first 2 shown]
	v_mul_f64 v[24:25], v[62:63], v[122:123]
	v_add_f64 v[4:5], v[4:5], v[12:13]
	v_add_f64 v[6:7], v[6:7], v[22:23]
	v_fmac_f64_e32 v[24:25], v[60:61], v[120:121]
	v_mul_f64 v[28:29], v[58:59], v[126:127]
	v_add_f64 v[4:5], v[4:5], v[20:21]
	v_add_f64 v[6:7], v[6:7], v[26:27]
	v_fmac_f64_e32 v[28:29], v[56:57], v[124:125]
	v_add_f64 v[4:5], v[4:5], v[24:25]
	v_add_f64 v[6:7], v[6:7], v[30:31]
	s_mov_b32 s24, 0x4267c47c
	s_mov_b32 s18, 0x42a4c3d2
	;; [unrolled: 1-line block ×6, first 2 shown]
	v_add_f64 v[4:5], v[4:5], v[28:29]
	v_add_f64 v[6:7], v[6:7], v[38:39]
	;; [unrolled: 1-line block ×3, first 2 shown]
	v_add_f64 v[34:35], v[34:35], -v[48:49]
	s_mov_b32 s25, 0xbfddbe06
	s_mov_b32 s26, 0xe00740e9
	s_mov_b32 s19, 0xbfea55e2
	s_mov_b32 s20, 0x1ea71119
	s_mov_b32 s1, 0xbfefc445
	s_mov_b32 s6, 0xebaa3ed8
	s_mov_b32 s31, 0xbfedeba7
	s_mov_b32 s34, 0xb2365da1
	s_mov_b32 s39, 0xbfe5384d
	s_mov_b32 s40, 0xd0032e0c
	s_mov_b32 s45, 0xbfcea1e5
	s_mov_b32 s46, 0x93053d00
	v_add_f64 v[4:5], v[4:5], v[36:37]
	v_add_f64 v[6:7], v[6:7], v[48:49]
	;; [unrolled: 1-line block ×3, first 2 shown]
	v_mul_f64 v[48:49], v[34:35], s[24:25]
	s_mov_b32 s27, 0x3fec55a7
	v_mul_f64 v[60:61], v[34:35], s[18:19]
	s_mov_b32 s21, 0x3fe22d96
	;; [unrolled: 2-line block ×6, first 2 shown]
	v_add_f64 v[4:5], v[4:5], v[52:53]
	v_add_f64 v[32:33], v[32:33], -v[52:53]
	v_fma_f64 v[52:53], s[26:27], v[50:51], v[48:49]
	v_fma_f64 v[48:49], v[50:51], s[26:27], -v[48:49]
	v_fma_f64 v[62:63], s[20:21], v[50:51], v[60:61]
	v_fma_f64 v[60:61], v[50:51], s[20:21], -v[60:61]
	;; [unrolled: 2-line block ×6, first 2 shown]
	v_add_f64 v[52:53], v[0:1], v[52:53]
	v_mul_f64 v[56:57], v[54:55], s[26:27]
	s_mov_b32 s29, 0x3fddbe06
	s_mov_b32 s28, s24
	v_add_f64 v[48:49], v[0:1], v[48:49]
	v_add_f64 v[62:63], v[0:1], v[62:63]
	v_mul_f64 v[96:97], v[54:55], s[20:21]
	s_mov_b32 s23, 0x3fea55e2
	s_mov_b32 s22, s18
	v_add_f64 v[60:61], v[0:1], v[60:61]
	;; [unrolled: 5-line block ×6, first 2 shown]
	v_add_f64 v[34:35], v[138:139], v[38:39]
	v_add_f64 v[38:39], v[138:139], -v[38:39]
	v_fma_f64 v[58:59], s[28:29], v[32:33], v[56:57]
	v_fmac_f64_e32 v[56:57], s[24:25], v[32:33]
	v_fma_f64 v[98:99], s[22:23], v[32:33], v[96:97]
	v_fmac_f64_e32 v[96:97], s[18:19], v[32:33]
	;; [unrolled: 2-line block ×6, first 2 shown]
	v_add_f64 v[32:33], v[136:137], v[36:37]
	v_mul_f64 v[50:51], v[38:39], s[18:19]
	v_add_f64 v[58:59], v[2:3], v[58:59]
	v_add_f64 v[56:57], v[2:3], v[56:57]
	;; [unrolled: 1-line block ×12, first 2 shown]
	v_fma_f64 v[54:55], s[20:21], v[32:33], v[50:51]
	v_add_f64 v[36:37], v[136:137], -v[36:37]
	v_add_f64 v[52:53], v[54:55], v[52:53]
	v_mul_f64 v[54:55], v[34:35], s[20:21]
	v_fma_f64 v[128:129], s[22:23], v[36:37], v[54:55]
	v_fma_f64 v[50:51], v[32:33], s[20:21], -v[50:51]
	v_fmac_f64_e32 v[54:55], s[18:19], v[36:37]
	v_add_f64 v[48:49], v[50:51], v[48:49]
	v_add_f64 v[50:51], v[54:55], v[56:57]
	v_mul_f64 v[54:55], v[38:39], s[30:31]
	v_fma_f64 v[56:57], s[34:35], v[32:33], v[54:55]
	v_add_f64 v[56:57], v[56:57], v[62:63]
	v_mul_f64 v[62:63], v[34:35], s[34:35]
	v_add_f64 v[58:59], v[128:129], v[58:59]
	v_fma_f64 v[128:129], s[36:37], v[36:37], v[62:63]
	v_fma_f64 v[54:55], v[32:33], s[34:35], -v[54:55]
	v_fmac_f64_e32 v[62:63], s[30:31], v[36:37]
	v_add_f64 v[54:55], v[54:55], v[60:61]
	v_add_f64 v[60:61], v[62:63], v[96:97]
	v_mul_f64 v[62:63], v[38:39], s[44:45]
	v_fma_f64 v[96:97], s[46:47], v[32:33], v[62:63]
	v_add_f64 v[96:97], v[96:97], v[102:103]
	v_mul_f64 v[102:103], v[34:35], s[46:47]
	v_add_f64 v[98:99], v[128:129], v[98:99]
	;; [unrolled: 10-line block ×4, first 2 shown]
	v_fma_f64 v[128:129], s[0:1], v[36:37], v[118:119]
	v_fma_f64 v[110:111], v[32:33], s[6:7], -v[110:111]
	v_fmac_f64_e32 v[118:119], s[16:17], v[36:37]
	v_mul_f64 v[34:35], v[34:35], s[26:27]
	v_add_f64 v[110:111], v[110:111], v[116:117]
	v_add_f64 v[116:117], v[118:119], v[120:121]
	v_mul_f64 v[38:39], v[38:39], s[28:29]
	v_fma_f64 v[120:121], s[24:25], v[36:37], v[34:35]
	v_fmac_f64_e32 v[34:35], s[28:29], v[36:37]
	v_fma_f64 v[118:119], s[26:27], v[32:33], v[38:39]
	v_fma_f64 v[32:33], v[32:33], s[26:27], -v[38:39]
	v_add_f64 v[2:3], v[34:35], v[2:3]
	v_add_f64 v[34:35], v[46:47], v[30:31]
	v_add_f64 v[30:31], v[46:47], -v[30:31]
	v_add_f64 v[0:1], v[32:33], v[0:1]
	v_add_f64 v[32:33], v[44:45], v[28:29]
	v_mul_f64 v[36:37], v[30:31], s[0:1]
	v_add_f64 v[28:29], v[44:45], -v[28:29]
	v_fma_f64 v[38:39], s[6:7], v[32:33], v[36:37]
	v_mul_f64 v[44:45], v[34:35], s[6:7]
	v_fma_f64 v[36:37], v[32:33], s[6:7], -v[36:37]
	v_fma_f64 v[46:47], s[16:17], v[28:29], v[44:45]
	v_add_f64 v[36:37], v[36:37], v[48:49]
	v_fmac_f64_e32 v[44:45], s[0:1], v[28:29]
	v_mul_f64 v[48:49], v[30:31], s[44:45]
	v_add_f64 v[44:45], v[44:45], v[50:51]
	v_fma_f64 v[50:51], s[46:47], v[32:33], v[48:49]
	v_fma_f64 v[48:49], v[32:33], s[46:47], -v[48:49]
	v_add_f64 v[48:49], v[48:49], v[54:55]
	v_mul_f64 v[54:55], v[30:31], s[36:37]
	v_add_f64 v[38:39], v[38:39], v[52:53]
	v_add_f64 v[46:47], v[46:47], v[58:59]
	v_mul_f64 v[52:53], v[34:35], s[46:47]
	v_fma_f64 v[58:59], s[34:35], v[32:33], v[54:55]
	v_fma_f64 v[54:55], v[32:33], s[34:35], -v[54:55]
	v_add_f64 v[50:51], v[50:51], v[56:57]
	v_fma_f64 v[56:57], s[48:49], v[28:29], v[52:53]
	v_fmac_f64_e32 v[52:53], s[44:45], v[28:29]
	v_add_f64 v[54:55], v[54:55], v[62:63]
	v_mul_f64 v[62:63], v[30:31], s[28:29]
	v_add_f64 v[56:57], v[56:57], v[98:99]
	v_add_f64 v[52:53], v[52:53], v[60:61]
	v_mul_f64 v[60:61], v[34:35], s[34:35]
	v_fma_f64 v[98:99], s[26:27], v[32:33], v[62:63]
	v_fma_f64 v[62:63], v[32:33], s[26:27], -v[62:63]
	v_add_f64 v[58:59], v[58:59], v[96:97]
	v_fma_f64 v[96:97], s[30:31], v[28:29], v[60:61]
	v_fmac_f64_e32 v[60:61], s[36:37], v[28:29]
	v_add_f64 v[62:63], v[62:63], v[102:103]
	v_mul_f64 v[102:103], v[30:31], s[18:19]
	v_add_f64 v[96:97], v[96:97], v[106:107]
	v_add_f64 v[60:61], v[60:61], v[100:101]
	v_mul_f64 v[100:101], v[34:35], s[26:27]
	v_fma_f64 v[106:107], s[20:21], v[32:33], v[102:103]
	v_fma_f64 v[102:103], v[32:33], s[20:21], -v[102:103]
	v_mul_f64 v[30:31], v[30:31], s[38:39]
	v_add_f64 v[98:99], v[98:99], v[104:105]
	v_fma_f64 v[104:105], s[24:25], v[28:29], v[100:101]
	v_fmac_f64_e32 v[100:101], s[28:29], v[28:29]
	v_add_f64 v[102:103], v[102:103], v[110:111]
	v_fma_f64 v[110:111], s[40:41], v[32:33], v[30:31]
	v_fma_f64 v[30:31], v[32:33], s[40:41], -v[30:31]
	v_add_f64 v[100:101], v[100:101], v[108:109]
	v_mul_f64 v[108:109], v[34:35], s[20:21]
	v_mul_f64 v[34:35], v[34:35], s[40:41]
	v_add_f64 v[0:1], v[30:31], v[0:1]
	v_add_f64 v[30:31], v[42:43], v[26:27]
	v_add_f64 v[26:27], v[42:43], -v[26:27]
	v_add_f64 v[104:105], v[104:105], v[114:115]
	v_add_f64 v[106:107], v[106:107], v[112:113]
	v_fma_f64 v[112:113], s[22:23], v[28:29], v[108:109]
	v_fmac_f64_e32 v[108:109], s[18:19], v[28:29]
	v_fma_f64 v[114:115], s[42:43], v[28:29], v[34:35]
	v_fmac_f64_e32 v[34:35], s[38:39], v[28:29]
	v_add_f64 v[28:29], v[40:41], v[24:25]
	v_mul_f64 v[32:33], v[26:27], s[30:31]
	v_add_f64 v[2:3], v[34:35], v[2:3]
	v_fma_f64 v[34:35], s[34:35], v[28:29], v[32:33]
	v_add_f64 v[24:25], v[40:41], -v[24:25]
	v_add_f64 v[34:35], v[34:35], v[38:39]
	v_mul_f64 v[38:39], v[30:31], s[34:35]
	v_fma_f64 v[40:41], s[36:37], v[24:25], v[38:39]
	v_fma_f64 v[32:33], v[28:29], s[34:35], -v[32:33]
	v_fmac_f64_e32 v[38:39], s[30:31], v[24:25]
	v_add_f64 v[32:33], v[32:33], v[36:37]
	v_add_f64 v[36:37], v[38:39], v[44:45]
	v_mul_f64 v[38:39], v[26:27], s[42:43]
	v_fma_f64 v[42:43], s[40:41], v[28:29], v[38:39]
	v_fma_f64 v[38:39], v[28:29], s[40:41], -v[38:39]
	v_add_f64 v[38:39], v[38:39], v[48:49]
	v_mul_f64 v[48:49], v[26:27], s[28:29]
	v_add_f64 v[42:43], v[42:43], v[50:51]
	v_mul_f64 v[44:45], v[30:31], s[40:41]
	v_fma_f64 v[50:51], s[26:27], v[28:29], v[48:49]
	v_fma_f64 v[48:49], v[28:29], s[26:27], -v[48:49]
	v_add_f64 v[40:41], v[40:41], v[46:47]
	v_fma_f64 v[46:47], s[38:39], v[24:25], v[44:45]
	v_fmac_f64_e32 v[44:45], s[42:43], v[24:25]
	v_add_f64 v[48:49], v[48:49], v[54:55]
	v_mul_f64 v[54:55], v[26:27], s[0:1]
	v_add_f64 v[44:45], v[44:45], v[52:53]
	v_add_f64 v[50:51], v[50:51], v[58:59]
	v_mul_f64 v[52:53], v[30:31], s[26:27]
	v_fma_f64 v[58:59], s[6:7], v[28:29], v[54:55]
	v_fma_f64 v[54:55], v[28:29], s[6:7], -v[54:55]
	v_add_f64 v[46:47], v[46:47], v[56:57]
	v_fma_f64 v[56:57], s[24:25], v[24:25], v[52:53]
	v_fmac_f64_e32 v[52:53], s[28:29], v[24:25]
	v_add_f64 v[54:55], v[54:55], v[62:63]
	v_mul_f64 v[62:63], v[26:27], s[48:49]
	v_add_f64 v[52:53], v[52:53], v[60:61]
	v_add_f64 v[58:59], v[58:59], v[98:99]
	v_mul_f64 v[60:61], v[30:31], s[6:7]
	v_fma_f64 v[98:99], s[46:47], v[28:29], v[62:63]
	v_fma_f64 v[62:63], v[28:29], s[46:47], -v[62:63]
	v_mul_f64 v[26:27], v[26:27], s[22:23]
	v_add_f64 v[56:57], v[56:57], v[96:97]
	v_fma_f64 v[96:97], s[16:17], v[24:25], v[60:61]
	v_fmac_f64_e32 v[60:61], s[0:1], v[24:25]
	v_add_f64 v[62:63], v[62:63], v[102:103]
	v_fma_f64 v[102:103], s[20:21], v[28:29], v[26:27]
	v_fma_f64 v[26:27], v[28:29], s[20:21], -v[26:27]
	v_add_f64 v[60:61], v[60:61], v[100:101]
	v_mul_f64 v[100:101], v[30:31], s[46:47]
	v_mul_f64 v[30:31], v[30:31], s[20:21]
	v_add_f64 v[0:1], v[26:27], v[0:1]
	v_add_f64 v[26:27], v[18:19], v[22:23]
	v_add_f64 v[18:19], v[18:19], -v[22:23]
	v_add_f64 v[96:97], v[96:97], v[104:105]
	v_add_f64 v[98:99], v[98:99], v[106:107]
	v_fma_f64 v[104:105], s[44:45], v[24:25], v[100:101]
	v_fmac_f64_e32 v[100:101], s[48:49], v[24:25]
	v_fma_f64 v[106:107], s[18:19], v[24:25], v[30:31]
	v_fmac_f64_e32 v[30:31], s[22:23], v[24:25]
	v_add_f64 v[24:25], v[16:17], v[20:21]
	v_add_f64 v[16:17], v[16:17], -v[20:21]
	v_mul_f64 v[20:21], v[18:19], s[38:39]
	v_fma_f64 v[22:23], s[40:41], v[24:25], v[20:21]
	v_mul_f64 v[28:29], v[26:27], s[40:41]
	v_fma_f64 v[20:21], v[24:25], s[40:41], -v[20:21]
	v_add_f64 v[2:3], v[30:31], v[2:3]
	v_fma_f64 v[30:31], s[42:43], v[16:17], v[28:29]
	v_add_f64 v[20:21], v[20:21], v[32:33]
	v_fmac_f64_e32 v[28:29], s[38:39], v[16:17]
	v_mul_f64 v[32:33], v[18:19], s[16:17]
	v_add_f64 v[22:23], v[22:23], v[34:35]
	v_add_f64 v[28:29], v[28:29], v[36:37]
	v_fma_f64 v[34:35], s[6:7], v[24:25], v[32:33]
	v_mul_f64 v[36:37], v[26:27], s[6:7]
	v_fma_f64 v[32:33], v[24:25], s[6:7], -v[32:33]
	v_add_f64 v[30:31], v[30:31], v[40:41]
	v_fma_f64 v[40:41], s[0:1], v[16:17], v[36:37]
	v_add_f64 v[32:33], v[32:33], v[38:39]
	v_fmac_f64_e32 v[36:37], s[16:17], v[16:17]
	v_mul_f64 v[38:39], v[18:19], s[18:19]
	v_add_f64 v[34:35], v[34:35], v[42:43]
	v_add_f64 v[36:37], v[36:37], v[44:45]
	v_fma_f64 v[42:43], s[20:21], v[24:25], v[38:39]
	v_mul_f64 v[44:45], v[26:27], s[20:21]
	v_fma_f64 v[38:39], v[24:25], s[20:21], -v[38:39]
	v_add_f64 v[40:41], v[40:41], v[46:47]
	v_fma_f64 v[46:47], s[22:23], v[16:17], v[44:45]
	v_add_f64 v[38:39], v[38:39], v[48:49]
	v_fmac_f64_e32 v[44:45], s[18:19], v[16:17]
	v_mul_f64 v[48:49], v[18:19], s[48:49]
	v_add_f64 v[42:43], v[42:43], v[50:51]
	v_add_f64 v[44:45], v[44:45], v[52:53]
	v_fma_f64 v[50:51], s[46:47], v[24:25], v[48:49]
	v_mul_f64 v[52:53], v[26:27], s[46:47]
	v_fma_f64 v[48:49], v[24:25], s[46:47], -v[48:49]
	v_add_f64 v[122:123], v[128:129], v[122:123]
	v_add_f64 v[118:119], v[118:119], v[124:125]
	;; [unrolled: 1-line block ×3, first 2 shown]
	v_fma_f64 v[56:57], s[44:45], v[16:17], v[52:53]
	v_add_f64 v[48:49], v[48:49], v[54:55]
	v_fmac_f64_e32 v[52:53], s[48:49], v[16:17]
	v_mul_f64 v[54:55], v[18:19], s[28:29]
	v_add_f64 v[120:121], v[120:121], v[126:127]
	v_add_f64 v[112:113], v[112:113], v[122:123]
	;; [unrolled: 1-line block ×6, first 2 shown]
	v_fma_f64 v[58:59], s[26:27], v[24:25], v[54:55]
	v_mul_f64 v[60:61], v[26:27], s[26:27]
	v_fma_f64 v[54:55], v[24:25], s[26:27], -v[54:55]
	v_mul_f64 v[18:19], v[18:19], s[30:31]
	v_add_f64 v[114:115], v[114:115], v[120:121]
	v_add_f64 v[104:105], v[104:105], v[112:113]
	;; [unrolled: 1-line block ×5, first 2 shown]
	v_fma_f64 v[96:97], s[24:25], v[16:17], v[60:61]
	v_add_f64 v[54:55], v[54:55], v[62:63]
	v_fmac_f64_e32 v[60:61], s[28:29], v[16:17]
	v_fma_f64 v[62:63], s[34:35], v[24:25], v[18:19]
	v_mul_f64 v[26:27], v[26:27], s[34:35]
	v_fma_f64 v[18:19], v[24:25], s[34:35], -v[18:19]
	v_add_f64 v[110:111], v[10:11], -v[14:15]
	v_add_f64 v[106:107], v[106:107], v[114:115]
	v_add_f64 v[58:59], v[58:59], v[98:99]
	;; [unrolled: 1-line block ×4, first 2 shown]
	v_fma_f64 v[98:99], s[36:37], v[16:17], v[26:27]
	v_add_f64 v[100:101], v[18:19], v[0:1]
	v_fmac_f64_e32 v[26:27], s[30:31], v[16:17]
	v_add_f64 v[104:105], v[8:9], v[12:13]
	v_mul_f64 v[0:1], v[110:111], s[44:45]
	v_add_f64 v[62:63], v[62:63], v[102:103]
	v_add_f64 v[98:99], v[98:99], v[106:107]
	;; [unrolled: 1-line block ×4, first 2 shown]
	v_fma_f64 v[2:3], s[46:47], v[104:105], v[0:1]
	v_mul_f64 v[16:17], v[110:111], s[28:29]
	v_add_f64 v[108:109], v[8:9], -v[12:13]
	v_add_f64 v[8:9], v[2:3], v[22:23]
	v_mul_f64 v[2:3], v[106:107], s[46:47]
	v_fma_f64 v[12:13], s[26:27], v[104:105], v[16:17]
	v_fma_f64 v[16:17], v[104:105], s[26:27], -v[16:17]
	v_fma_f64 v[10:11], s[48:49], v[108:109], v[2:3]
	v_fma_f64 v[0:1], v[104:105], s[46:47], -v[0:1]
	v_fmac_f64_e32 v[2:3], s[44:45], v[108:109]
	v_mul_f64 v[18:19], v[106:107], s[26:27]
	v_add_f64 v[16:17], v[16:17], v[32:33]
	v_mul_f64 v[24:25], v[110:111], s[38:39]
	v_mul_f64 v[32:33], v[110:111], s[22:23]
	v_add_f64 v[0:1], v[0:1], v[20:21]
	v_add_f64 v[2:3], v[2:3], v[28:29]
	v_fma_f64 v[14:15], s[24:25], v[108:109], v[18:19]
	v_fma_f64 v[20:21], s[40:41], v[104:105], v[24:25]
	v_mul_f64 v[26:27], v[106:107], s[40:41]
	v_fma_f64 v[28:29], s[20:21], v[104:105], v[32:33]
	v_fma_f64 v[32:33], v[104:105], s[20:21], -v[32:33]
	v_add_f64 v[12:13], v[12:13], v[34:35]
	v_add_f64 v[14:15], v[14:15], v[40:41]
	v_fmac_f64_e32 v[18:19], s[28:29], v[108:109]
	v_add_f64 v[20:21], v[20:21], v[42:43]
	v_fma_f64 v[22:23], s[42:43], v[108:109], v[26:27]
	v_fma_f64 v[24:25], v[104:105], s[40:41], -v[24:25]
	v_fmac_f64_e32 v[26:27], s[38:39], v[108:109]
	v_add_f64 v[28:29], v[28:29], v[50:51]
	v_mul_f64 v[34:35], v[106:107], s[20:21]
	v_add_f64 v[32:33], v[32:33], v[48:49]
	v_mul_f64 v[40:41], v[110:111], s[30:31]
	v_mul_f64 v[42:43], v[106:107], s[34:35]
	;; [unrolled: 1-line block ×4, first 2 shown]
	v_add_f64 v[10:11], v[10:11], v[30:31]
	v_add_f64 v[18:19], v[18:19], v[36:37]
	;; [unrolled: 1-line block ×5, first 2 shown]
	v_fma_f64 v[30:31], s[18:19], v[108:109], v[34:35]
	v_fmac_f64_e32 v[34:35], s[22:23], v[108:109]
	v_fma_f64 v[36:37], s[34:35], v[104:105], v[40:41]
	v_fma_f64 v[38:39], s[36:37], v[108:109], v[42:43]
	;; [unrolled: 1-line block ×4, first 2 shown]
	v_fma_f64 v[48:49], v[104:105], s[6:7], -v[48:49]
	v_fmac_f64_e32 v[50:51], s[16:17], v[108:109]
	v_add_f64 v[30:31], v[30:31], v[56:57]
	v_add_f64 v[34:35], v[34:35], v[52:53]
	;; [unrolled: 1-line block ×4, first 2 shown]
	v_fma_f64 v[40:41], v[104:105], s[34:35], -v[40:41]
	v_fmac_f64_e32 v[42:43], s[30:31], v[108:109]
	v_add_f64 v[48:49], v[48:49], v[100:101]
	v_add_f64 v[50:51], v[50:51], v[102:103]
	;; [unrolled: 1-line block ×6, first 2 shown]
	s_waitcnt lgkmcnt(0)
	; wave barrier
	ds_write_b128 v182, v[4:7]
	ds_write_b128 v182, v[8:11] offset:272
	ds_write_b128 v182, v[12:15] offset:544
	;; [unrolled: 1-line block ×12, first 2 shown]
	s_waitcnt lgkmcnt(0)
	; wave barrier
	s_waitcnt lgkmcnt(0)
	ds_read_b128 v[16:19], v208
	ds_read_b128 v[12:15], v208 offset:816
	ds_read_b128 v[56:59], v208 offset:3536
	;; [unrolled: 1-line block ×11, first 2 shown]
	s_and_saveexec_b64 s[0:1], s[2:3]
	s_cbranch_execz .LBB0_19
; %bb.18:
	ds_read_b128 v[0:3], v208 offset:3264
	ds_read_b128 v[156:159], v208 offset:6800
	;; [unrolled: 1-line block ×3, first 2 shown]
.LBB0_19:
	s_or_b64 exec, exec, s[0:1]
	s_waitcnt lgkmcnt(7)
	v_mul_f64 v[44:45], v[66:67], v[54:55]
	v_mul_f64 v[40:41], v[70:71], v[58:59]
	v_fmac_f64_e32 v[44:45], v[64:65], v[52:53]
	v_mul_f64 v[46:47], v[66:67], v[52:53]
	v_mul_f64 v[52:53], v[78:79], v[50:51]
	s_waitcnt lgkmcnt(0)
	v_mul_f64 v[66:67], v[90:91], v[22:23]
	v_fmac_f64_e32 v[40:41], v[68:69], v[56:57]
	v_mul_f64 v[42:43], v[70:71], v[56:57]
	v_fmac_f64_e32 v[52:53], v[76:77], v[48:49]
	v_mul_f64 v[48:49], v[78:79], v[48:49]
	v_mul_f64 v[62:63], v[94:95], v[26:27]
	v_fmac_f64_e32 v[66:67], v[88:89], v[20:21]
	v_mul_f64 v[20:21], v[90:91], v[20:21]
	v_fma_f64 v[42:43], v[68:69], v[58:59], -v[42:43]
	v_fma_f64 v[46:47], v[64:65], v[54:55], -v[46:47]
	;; [unrolled: 1-line block ×3, first 2 shown]
	v_mul_f64 v[50:51], v[74:75], v[34:35]
	v_mul_f64 v[58:59], v[82:83], v[30:31]
	v_fmac_f64_e32 v[62:63], v[92:93], v[24:25]
	v_mul_f64 v[24:25], v[94:95], v[24:25]
	v_fma_f64 v[68:69], v[88:89], v[22:23], -v[20:21]
	v_add_f64 v[22:23], v[40:41], v[44:45]
	s_mov_b32 s0, 0xe8584caa
	v_fmac_f64_e32 v[50:51], v[72:73], v[32:33]
	v_mul_f64 v[32:33], v[74:75], v[32:33]
	v_fmac_f64_e32 v[58:59], v[80:81], v[28:29]
	v_mul_f64 v[28:29], v[82:83], v[28:29]
	v_fma_f64 v[64:65], v[92:93], v[26:27], -v[24:25]
	v_add_f64 v[20:21], v[16:17], v[40:41]
	v_fmac_f64_e32 v[16:17], -0.5, v[22:23]
	v_add_f64 v[22:23], v[42:43], -v[46:47]
	s_mov_b32 s1, 0xbfebb67a
	s_mov_b32 s7, 0x3febb67a
	;; [unrolled: 1-line block ×3, first 2 shown]
	v_add_f64 v[26:27], v[42:43], v[46:47]
	v_fma_f64 v[34:35], v[72:73], v[34:35], -v[32:33]
	v_fma_f64 v[60:61], v[80:81], v[30:31], -v[28:29]
	v_fma_f64 v[24:25], s[0:1], v[22:23], v[16:17]
	v_fmac_f64_e32 v[16:17], s[6:7], v[22:23]
	v_add_f64 v[22:23], v[18:19], v[42:43]
	v_fmac_f64_e32 v[18:19], -0.5, v[26:27]
	v_add_f64 v[28:29], v[40:41], -v[44:45]
	v_add_f64 v[30:31], v[52:53], v[50:51]
	v_mul_f64 v[32:33], v[86:87], v[36:37]
	v_fma_f64 v[26:27], s[6:7], v[28:29], v[18:19]
	v_fmac_f64_e32 v[18:19], s[0:1], v[28:29]
	v_add_f64 v[28:29], v[12:13], v[52:53]
	v_fmac_f64_e32 v[12:13], -0.5, v[30:31]
	v_add_f64 v[30:31], v[48:49], -v[34:35]
	v_mul_f64 v[54:55], v[86:87], v[38:39]
	v_fma_f64 v[56:57], v[84:85], v[38:39], -v[32:33]
	v_fma_f64 v[32:33], s[0:1], v[30:31], v[12:13]
	v_fmac_f64_e32 v[12:13], s[6:7], v[30:31]
	v_add_f64 v[30:31], v[14:15], v[48:49]
	v_fmac_f64_e32 v[54:55], v[84:85], v[36:37]
	v_add_f64 v[30:31], v[30:31], v[34:35]
	v_add_f64 v[34:35], v[48:49], v[34:35]
	v_fmac_f64_e32 v[14:15], -0.5, v[34:35]
	v_add_f64 v[36:37], v[52:53], -v[50:51]
	v_add_f64 v[38:39], v[54:55], v[58:59]
	v_fma_f64 v[34:35], s[6:7], v[36:37], v[14:15]
	v_fmac_f64_e32 v[14:15], s[0:1], v[36:37]
	v_add_f64 v[36:37], v[8:9], v[54:55]
	v_fmac_f64_e32 v[8:9], -0.5, v[38:39]
	v_add_f64 v[38:39], v[56:57], -v[60:61]
	v_add_f64 v[42:43], v[56:57], v[60:61]
	v_add_f64 v[20:21], v[20:21], v[44:45]
	v_add_f64 v[22:23], v[22:23], v[46:47]
	v_fma_f64 v[40:41], s[0:1], v[38:39], v[8:9]
	v_fmac_f64_e32 v[8:9], s[6:7], v[38:39]
	v_add_f64 v[38:39], v[10:11], v[56:57]
	v_fmac_f64_e32 v[10:11], -0.5, v[42:43]
	v_add_f64 v[44:45], v[54:55], -v[58:59]
	v_add_f64 v[46:47], v[62:63], v[66:67]
	v_add_f64 v[28:29], v[28:29], v[50:51]
	v_fma_f64 v[42:43], s[6:7], v[44:45], v[10:11]
	v_fmac_f64_e32 v[10:11], s[0:1], v[44:45]
	v_add_f64 v[44:45], v[4:5], v[62:63]
	v_fmac_f64_e32 v[4:5], -0.5, v[46:47]
	v_add_f64 v[46:47], v[64:65], -v[68:69]
	v_add_f64 v[50:51], v[64:65], v[68:69]
	v_fma_f64 v[48:49], s[0:1], v[46:47], v[4:5]
	v_fmac_f64_e32 v[4:5], s[6:7], v[46:47]
	v_add_f64 v[46:47], v[6:7], v[64:65]
	v_fmac_f64_e32 v[6:7], -0.5, v[50:51]
	v_add_f64 v[52:53], v[62:63], -v[66:67]
	v_add_f64 v[36:37], v[36:37], v[58:59]
	v_add_f64 v[38:39], v[38:39], v[60:61]
	;; [unrolled: 1-line block ×4, first 2 shown]
	v_fma_f64 v[50:51], s[6:7], v[52:53], v[6:7]
	v_fmac_f64_e32 v[6:7], s[0:1], v[52:53]
	ds_write_b128 v208, v[20:23]
	ds_write_b128 v208, v[24:27] offset:3536
	ds_write_b128 v208, v[16:19] offset:7072
	;; [unrolled: 1-line block ×11, first 2 shown]
	s_mov_b64 s[16:17], exec
	s_and_b64 s[2:3], s[16:17], s[2:3]
	v_accvgpr_read_b32 v26, a0
	s_mov_b64 exec, s[2:3]
	s_cbranch_execz .LBB0_21
; %bb.20:
	v_mul_f64 v[4:5], v[206:207], v[156:157]
	v_fma_f64 v[6:7], v[204:205], v[158:159], -v[4:5]
	v_mul_f64 v[4:5], v[202:203], v[160:161]
	v_fma_f64 v[10:11], v[200:201], v[162:163], -v[4:5]
	v_mul_f64 v[14:15], v[206:207], v[158:159]
	v_mul_f64 v[16:17], v[202:203], v[162:163]
	v_add_f64 v[4:5], v[6:7], v[10:11]
	v_fmac_f64_e32 v[14:15], v[204:205], v[156:157]
	v_fmac_f64_e32 v[16:17], v[200:201], v[160:161]
	v_fma_f64 v[4:5], -0.5, v[4:5], v[2:3]
	v_add_f64 v[12:13], v[14:15], -v[16:17]
	v_add_f64 v[2:3], v[2:3], v[6:7]
	v_fma_f64 v[8:9], s[0:1], v[12:13], v[4:5]
	v_fmac_f64_e32 v[4:5], s[6:7], v[12:13]
	v_add_f64 v[12:13], v[2:3], v[10:11]
	v_add_f64 v[2:3], v[14:15], v[16:17]
	v_fma_f64 v[2:3], -0.5, v[2:3], v[0:1]
	v_add_f64 v[10:11], v[6:7], -v[10:11]
	v_add_f64 v[0:1], v[0:1], v[14:15]
	v_fma_f64 v[6:7], s[6:7], v[10:11], v[2:3]
	v_fmac_f64_e32 v[2:3], s[0:1], v[10:11]
	v_add_f64 v[10:11], v[0:1], v[16:17]
	ds_write_b128 v208, v[10:13] offset:3264
	ds_write_b128 v208, v[2:5] offset:6800
	;; [unrolled: 1-line block ×3, first 2 shown]
.LBB0_21:
	s_or_b64 exec, exec, s[16:17]
	s_waitcnt lgkmcnt(0)
	; wave barrier
	s_waitcnt lgkmcnt(0)
	s_and_b64 exec, exec, s[4:5]
	s_cbranch_execz .LBB0_23
; %bb.22:
	global_load_dwordx4 v[0:3], v208, s[12:13]
	v_accvgpr_read_b32 v28, a84
	v_mad_u64_u32 v[14:15], s[0:1], s10, v28, 0
	ds_read_b128 v[4:7], v208
	ds_read_b128 v[8:11], v208 offset:624
	ds_read_b128 v[18:21], v208 offset:9984
	v_mov_b32_e32 v22, v15
	v_mad_u64_u32 v[16:17], s[2:3], s8, v26, 0
	v_mad_u64_u32 v[22:23], s[2:3], s11, v28, v[22:23]
	v_mov_b32_e32 v12, s14
	v_mov_b32_e32 v13, s15
	;; [unrolled: 1-line block ×4, first 2 shown]
	s_mov_b32 s0, 0x18b64019
	v_mad_u64_u32 v[24:25], s[2:3], s9, v26, v[24:25]
	v_lshl_add_u64 v[12:13], v[14:15], 4, v[12:13]
	s_mov_b32 s1, 0x3f58b640
	v_mov_b32_e32 v17, v24
	v_lshl_add_u64 v[12:13], v[16:17], 4, v[12:13]
	v_mov_b32_e32 v24, 0x270
	s_mul_i32 s2, s9, 0x270
	v_mov_b32_e32 v209, 0
	s_movk_i32 s3, 0x1000
	s_waitcnt vmcnt(0) lgkmcnt(2)
	v_mul_f64 v[14:15], v[6:7], v[2:3]
	v_mul_f64 v[2:3], v[4:5], v[2:3]
	v_fmac_f64_e32 v[14:15], v[4:5], v[0:1]
	v_fma_f64 v[2:3], v[0:1], v[6:7], -v[2:3]
	v_mul_f64 v[0:1], v[14:15], s[0:1]
	v_mul_f64 v[2:3], v[2:3], s[0:1]
	global_store_dwordx4 v[12:13], v[0:3], off
	global_load_dwordx4 v[0:3], v208, s[12:13] offset:624
	v_mad_u64_u32 v[12:13], s[4:5], s8, v24, v[12:13]
	v_add_u32_e32 v13, s2, v13
	s_waitcnt vmcnt(0) lgkmcnt(1)
	v_mul_f64 v[4:5], v[10:11], v[2:3]
	v_mul_f64 v[2:3], v[8:9], v[2:3]
	v_fmac_f64_e32 v[4:5], v[8:9], v[0:1]
	v_fma_f64 v[2:3], v[0:1], v[10:11], -v[2:3]
	v_mul_f64 v[0:1], v[4:5], s[0:1]
	v_mul_f64 v[2:3], v[2:3], s[0:1]
	global_store_dwordx4 v[12:13], v[0:3], off
	global_load_dwordx4 v[0:3], v208, s[12:13] offset:1248
	ds_read_b128 v[4:7], v208 offset:1248
	ds_read_b128 v[8:11], v208 offset:1872
	v_mad_u64_u32 v[12:13], s[4:5], s8, v24, v[12:13]
	v_add_u32_e32 v13, s2, v13
	s_waitcnt vmcnt(0) lgkmcnt(1)
	v_mul_f64 v[14:15], v[6:7], v[2:3]
	v_mul_f64 v[2:3], v[4:5], v[2:3]
	v_fmac_f64_e32 v[14:15], v[4:5], v[0:1]
	v_fma_f64 v[2:3], v[0:1], v[6:7], -v[2:3]
	v_mul_f64 v[0:1], v[14:15], s[0:1]
	v_mul_f64 v[2:3], v[2:3], s[0:1]
	global_store_dwordx4 v[12:13], v[0:3], off
	global_load_dwordx4 v[0:3], v208, s[12:13] offset:1872
	v_mad_u64_u32 v[12:13], s[4:5], s8, v24, v[12:13]
	v_add_u32_e32 v13, s2, v13
	s_waitcnt vmcnt(0) lgkmcnt(0)
	v_mul_f64 v[4:5], v[10:11], v[2:3]
	v_mul_f64 v[2:3], v[8:9], v[2:3]
	v_fmac_f64_e32 v[4:5], v[8:9], v[0:1]
	v_fma_f64 v[2:3], v[0:1], v[10:11], -v[2:3]
	v_mul_f64 v[0:1], v[4:5], s[0:1]
	v_mul_f64 v[2:3], v[2:3], s[0:1]
	global_store_dwordx4 v[12:13], v[0:3], off
	global_load_dwordx4 v[0:3], v208, s[12:13] offset:2496
	ds_read_b128 v[4:7], v208 offset:2496
	ds_read_b128 v[8:11], v208 offset:3120
	v_mad_u64_u32 v[12:13], s[4:5], s8, v24, v[12:13]
	v_add_u32_e32 v13, s2, v13
	s_waitcnt vmcnt(0) lgkmcnt(1)
	v_mul_f64 v[14:15], v[6:7], v[2:3]
	v_mul_f64 v[2:3], v[4:5], v[2:3]
	v_fmac_f64_e32 v[14:15], v[4:5], v[0:1]
	v_fma_f64 v[2:3], v[0:1], v[6:7], -v[2:3]
	v_mul_f64 v[0:1], v[14:15], s[0:1]
	v_mul_f64 v[2:3], v[2:3], s[0:1]
	global_store_dwordx4 v[12:13], v[0:3], off
	global_load_dwordx4 v[0:3], v208, s[12:13] offset:3120
	v_mad_u64_u32 v[12:13], s[4:5], s8, v24, v[12:13]
	v_add_u32_e32 v13, s2, v13
	v_lshl_add_u64 v[14:15], s[12:13], 0, v[208:209]
	v_add_co_u32_e32 v16, vcc, s3, v14
	s_movk_i32 s3, 0x2000
	s_nop 0
	v_addc_co_u32_e32 v17, vcc, 0, v15, vcc
	v_add_co_u32_e32 v14, vcc, s3, v14
	s_waitcnt vmcnt(0) lgkmcnt(0)
	v_mul_f64 v[4:5], v[10:11], v[2:3]
	v_mul_f64 v[2:3], v[8:9], v[2:3]
	v_fmac_f64_e32 v[4:5], v[8:9], v[0:1]
	v_fma_f64 v[2:3], v[0:1], v[10:11], -v[2:3]
	v_mul_f64 v[0:1], v[4:5], s[0:1]
	v_mul_f64 v[2:3], v[2:3], s[0:1]
	global_store_dwordx4 v[12:13], v[0:3], off
	global_load_dwordx4 v[0:3], v208, s[12:13] offset:3744
	ds_read_b128 v[4:7], v208 offset:3744
	ds_read_b128 v[8:11], v208 offset:4368
	v_mad_u64_u32 v[12:13], s[4:5], s8, v24, v[12:13]
	v_add_u32_e32 v13, s2, v13
	v_addc_co_u32_e32 v15, vcc, 0, v15, vcc
	s_waitcnt vmcnt(0) lgkmcnt(1)
	v_mul_f64 v[22:23], v[6:7], v[2:3]
	v_mul_f64 v[2:3], v[4:5], v[2:3]
	v_fmac_f64_e32 v[22:23], v[4:5], v[0:1]
	v_fma_f64 v[2:3], v[0:1], v[6:7], -v[2:3]
	v_mul_f64 v[0:1], v[22:23], s[0:1]
	v_mul_f64 v[2:3], v[2:3], s[0:1]
	global_store_dwordx4 v[12:13], v[0:3], off
	global_load_dwordx4 v[0:3], v[16:17], off offset:272
	v_mad_u64_u32 v[12:13], s[4:5], s8, v24, v[12:13]
	v_add_u32_e32 v13, s2, v13
	s_waitcnt vmcnt(0) lgkmcnt(0)
	v_mul_f64 v[4:5], v[10:11], v[2:3]
	v_mul_f64 v[2:3], v[8:9], v[2:3]
	v_fmac_f64_e32 v[4:5], v[8:9], v[0:1]
	v_fma_f64 v[2:3], v[0:1], v[10:11], -v[2:3]
	v_mul_f64 v[0:1], v[4:5], s[0:1]
	v_mul_f64 v[2:3], v[2:3], s[0:1]
	global_store_dwordx4 v[12:13], v[0:3], off
	global_load_dwordx4 v[0:3], v[16:17], off offset:896
	ds_read_b128 v[4:7], v208 offset:4992
	ds_read_b128 v[8:11], v208 offset:5616
	v_mad_u64_u32 v[12:13], s[4:5], s8, v24, v[12:13]
	v_add_u32_e32 v13, s2, v13
	s_waitcnt vmcnt(0) lgkmcnt(1)
	v_mul_f64 v[22:23], v[6:7], v[2:3]
	v_mul_f64 v[2:3], v[4:5], v[2:3]
	v_fmac_f64_e32 v[22:23], v[4:5], v[0:1]
	v_fma_f64 v[2:3], v[0:1], v[6:7], -v[2:3]
	v_mul_f64 v[0:1], v[22:23], s[0:1]
	v_mul_f64 v[2:3], v[2:3], s[0:1]
	global_store_dwordx4 v[12:13], v[0:3], off
	global_load_dwordx4 v[0:3], v[16:17], off offset:1520
	v_mad_u64_u32 v[12:13], s[4:5], s8, v24, v[12:13]
	v_add_u32_e32 v13, s2, v13
	s_waitcnt vmcnt(0) lgkmcnt(0)
	v_mul_f64 v[4:5], v[10:11], v[2:3]
	v_mul_f64 v[2:3], v[8:9], v[2:3]
	v_fmac_f64_e32 v[4:5], v[8:9], v[0:1]
	v_fma_f64 v[2:3], v[0:1], v[10:11], -v[2:3]
	v_mul_f64 v[0:1], v[4:5], s[0:1]
	v_mul_f64 v[2:3], v[2:3], s[0:1]
	global_store_dwordx4 v[12:13], v[0:3], off
	global_load_dwordx4 v[0:3], v[16:17], off offset:2144
	ds_read_b128 v[4:7], v208 offset:6240
	ds_read_b128 v[8:11], v208 offset:6864
	v_mad_u64_u32 v[12:13], s[4:5], s8, v24, v[12:13]
	v_add_u32_e32 v13, s2, v13
	;; [unrolled: 24-line block ×4, first 2 shown]
	s_waitcnt vmcnt(0) lgkmcnt(1)
	v_mul_f64 v[16:17], v[6:7], v[2:3]
	v_mul_f64 v[2:3], v[4:5], v[2:3]
	v_fmac_f64_e32 v[16:17], v[4:5], v[0:1]
	v_fma_f64 v[2:3], v[0:1], v[6:7], -v[2:3]
	v_mul_f64 v[0:1], v[16:17], s[0:1]
	v_mul_f64 v[2:3], v[2:3], s[0:1]
	global_store_dwordx4 v[12:13], v[0:3], off
	global_load_dwordx4 v[0:3], v[14:15], off offset:1168
	v_mad_u64_u32 v[4:5], s[4:5], s8, v24, v[12:13]
	v_add_u32_e32 v5, s2, v5
	s_waitcnt vmcnt(0) lgkmcnt(0)
	v_mul_f64 v[6:7], v[10:11], v[2:3]
	v_mul_f64 v[2:3], v[8:9], v[2:3]
	v_fmac_f64_e32 v[6:7], v[8:9], v[0:1]
	v_fma_f64 v[2:3], v[0:1], v[10:11], -v[2:3]
	v_mul_f64 v[0:1], v[6:7], s[0:1]
	v_mul_f64 v[2:3], v[2:3], s[0:1]
	global_store_dwordx4 v[4:5], v[0:3], off
	global_load_dwordx4 v[0:3], v[14:15], off offset:1792
	v_mad_u64_u32 v[4:5], s[4:5], s8, v24, v[4:5]
	v_add_u32_e32 v5, s2, v5
	s_waitcnt vmcnt(0)
	v_mul_f64 v[6:7], v[20:21], v[2:3]
	v_mul_f64 v[2:3], v[18:19], v[2:3]
	v_fmac_f64_e32 v[6:7], v[18:19], v[0:1]
	v_fma_f64 v[2:3], v[0:1], v[20:21], -v[2:3]
	v_mul_f64 v[0:1], v[6:7], s[0:1]
	v_mul_f64 v[2:3], v[2:3], s[0:1]
	global_store_dwordx4 v[4:5], v[0:3], off
.LBB0_23:
	s_endpgm
	.section	.rodata,"a",@progbits
	.p2align	6, 0x0
	.amdhsa_kernel bluestein_single_fwd_len663_dim1_dp_op_CI_CI
		.amdhsa_group_segment_fixed_size 10608
		.amdhsa_private_segment_fixed_size 0
		.amdhsa_kernarg_size 104
		.amdhsa_user_sgpr_count 2
		.amdhsa_user_sgpr_dispatch_ptr 0
		.amdhsa_user_sgpr_queue_ptr 0
		.amdhsa_user_sgpr_kernarg_segment_ptr 1
		.amdhsa_user_sgpr_dispatch_id 0
		.amdhsa_user_sgpr_kernarg_preload_length 0
		.amdhsa_user_sgpr_kernarg_preload_offset 0
		.amdhsa_user_sgpr_private_segment_size 0
		.amdhsa_uses_dynamic_stack 0
		.amdhsa_enable_private_segment 0
		.amdhsa_system_sgpr_workgroup_id_x 1
		.amdhsa_system_sgpr_workgroup_id_y 0
		.amdhsa_system_sgpr_workgroup_id_z 0
		.amdhsa_system_sgpr_workgroup_info 0
		.amdhsa_system_vgpr_workitem_id 0
		.amdhsa_next_free_vgpr 372
		.amdhsa_next_free_sgpr 64
		.amdhsa_accum_offset 256
		.amdhsa_reserve_vcc 1
		.amdhsa_float_round_mode_32 0
		.amdhsa_float_round_mode_16_64 0
		.amdhsa_float_denorm_mode_32 3
		.amdhsa_float_denorm_mode_16_64 3
		.amdhsa_dx10_clamp 1
		.amdhsa_ieee_mode 1
		.amdhsa_fp16_overflow 0
		.amdhsa_tg_split 0
		.amdhsa_exception_fp_ieee_invalid_op 0
		.amdhsa_exception_fp_denorm_src 0
		.amdhsa_exception_fp_ieee_div_zero 0
		.amdhsa_exception_fp_ieee_overflow 0
		.amdhsa_exception_fp_ieee_underflow 0
		.amdhsa_exception_fp_ieee_inexact 0
		.amdhsa_exception_int_div_zero 0
	.end_amdhsa_kernel
	.text
.Lfunc_end0:
	.size	bluestein_single_fwd_len663_dim1_dp_op_CI_CI, .Lfunc_end0-bluestein_single_fwd_len663_dim1_dp_op_CI_CI
                                        ; -- End function
	.section	.AMDGPU.csdata,"",@progbits
; Kernel info:
; codeLenInByte = 30852
; NumSgprs: 70
; NumVgprs: 256
; NumAgprs: 116
; TotalNumVgprs: 372
; ScratchSize: 0
; MemoryBound: 0
; FloatMode: 240
; IeeeMode: 1
; LDSByteSize: 10608 bytes/workgroup (compile time only)
; SGPRBlocks: 8
; VGPRBlocks: 46
; NumSGPRsForWavesPerEU: 70
; NumVGPRsForWavesPerEU: 372
; AccumOffset: 256
; Occupancy: 1
; WaveLimiterHint : 1
; COMPUTE_PGM_RSRC2:SCRATCH_EN: 0
; COMPUTE_PGM_RSRC2:USER_SGPR: 2
; COMPUTE_PGM_RSRC2:TRAP_HANDLER: 0
; COMPUTE_PGM_RSRC2:TGID_X_EN: 1
; COMPUTE_PGM_RSRC2:TGID_Y_EN: 0
; COMPUTE_PGM_RSRC2:TGID_Z_EN: 0
; COMPUTE_PGM_RSRC2:TIDIG_COMP_CNT: 0
; COMPUTE_PGM_RSRC3_GFX90A:ACCUM_OFFSET: 63
; COMPUTE_PGM_RSRC3_GFX90A:TG_SPLIT: 0
	.text
	.p2alignl 6, 3212836864
	.fill 256, 4, 3212836864
	.type	__hip_cuid_2a064dc8e49b5c26,@object ; @__hip_cuid_2a064dc8e49b5c26
	.section	.bss,"aw",@nobits
	.globl	__hip_cuid_2a064dc8e49b5c26
__hip_cuid_2a064dc8e49b5c26:
	.byte	0                               ; 0x0
	.size	__hip_cuid_2a064dc8e49b5c26, 1

	.ident	"AMD clang version 19.0.0git (https://github.com/RadeonOpenCompute/llvm-project roc-6.4.0 25133 c7fe45cf4b819c5991fe208aaa96edf142730f1d)"
	.section	".note.GNU-stack","",@progbits
	.addrsig
	.addrsig_sym __hip_cuid_2a064dc8e49b5c26
	.amdgpu_metadata
---
amdhsa.kernels:
  - .agpr_count:     116
    .args:
      - .actual_access:  read_only
        .address_space:  global
        .offset:         0
        .size:           8
        .value_kind:     global_buffer
      - .actual_access:  read_only
        .address_space:  global
        .offset:         8
        .size:           8
        .value_kind:     global_buffer
      - .actual_access:  read_only
        .address_space:  global
        .offset:         16
        .size:           8
        .value_kind:     global_buffer
      - .actual_access:  read_only
        .address_space:  global
        .offset:         24
        .size:           8
        .value_kind:     global_buffer
      - .actual_access:  read_only
        .address_space:  global
        .offset:         32
        .size:           8
        .value_kind:     global_buffer
      - .offset:         40
        .size:           8
        .value_kind:     by_value
      - .address_space:  global
        .offset:         48
        .size:           8
        .value_kind:     global_buffer
      - .address_space:  global
        .offset:         56
        .size:           8
        .value_kind:     global_buffer
      - .address_space:  global
        .offset:         64
        .size:           8
        .value_kind:     global_buffer
      - .address_space:  global
        .offset:         72
        .size:           8
        .value_kind:     global_buffer
      - .offset:         80
        .size:           4
        .value_kind:     by_value
      - .address_space:  global
        .offset:         88
        .size:           8
        .value_kind:     global_buffer
      - .address_space:  global
        .offset:         96
        .size:           8
        .value_kind:     global_buffer
    .group_segment_fixed_size: 10608
    .kernarg_segment_align: 8
    .kernarg_segment_size: 104
    .language:       OpenCL C
    .language_version:
      - 2
      - 0
    .max_flat_workgroup_size: 51
    .name:           bluestein_single_fwd_len663_dim1_dp_op_CI_CI
    .private_segment_fixed_size: 0
    .sgpr_count:     70
    .sgpr_spill_count: 0
    .symbol:         bluestein_single_fwd_len663_dim1_dp_op_CI_CI.kd
    .uniform_work_group_size: 1
    .uses_dynamic_stack: false
    .vgpr_count:     372
    .vgpr_spill_count: 0
    .wavefront_size: 64
amdhsa.target:   amdgcn-amd-amdhsa--gfx950
amdhsa.version:
  - 1
  - 2
...

	.end_amdgpu_metadata
